;; amdgpu-corpus repo=ROCm/rocSPARSE kind=compiled arch=gfx906 opt=O3
	.amdgcn_target "amdgcn-amd-amdhsa--gfx906"
	.amdhsa_code_object_version 6
	.section	.text._ZN9rocsparseL12csrgemm_copyILj1024EiiEEvT0_PKT1_PS2_21rocsparse_index_base_S6_,"axG",@progbits,_ZN9rocsparseL12csrgemm_copyILj1024EiiEEvT0_PKT1_PS2_21rocsparse_index_base_S6_,comdat
	.globl	_ZN9rocsparseL12csrgemm_copyILj1024EiiEEvT0_PKT1_PS2_21rocsparse_index_base_S6_ ; -- Begin function _ZN9rocsparseL12csrgemm_copyILj1024EiiEEvT0_PKT1_PS2_21rocsparse_index_base_S6_
	.p2align	8
	.type	_ZN9rocsparseL12csrgemm_copyILj1024EiiEEvT0_PKT1_PS2_21rocsparse_index_base_S6_,@function
_ZN9rocsparseL12csrgemm_copyILj1024EiiEEvT0_PKT1_PS2_21rocsparse_index_base_S6_: ; @_ZN9rocsparseL12csrgemm_copyILj1024EiiEEvT0_PKT1_PS2_21rocsparse_index_base_S6_
; %bb.0:
	s_load_dword s0, s[4:5], 0x0
	v_lshl_or_b32 v0, s6, 10, v0
	s_waitcnt lgkmcnt(0)
	v_cmp_gt_i32_e32 vcc, s0, v0
	s_and_saveexec_b64 s[0:1], vcc
	s_cbranch_execz .LBB0_2
; %bb.1:
	s_load_dwordx4 s[0:3], s[4:5], 0x8
	s_load_dwordx2 s[6:7], s[4:5], 0x18
	v_ashrrev_i32_e32 v1, 31, v0
	v_lshlrev_b64 v[0:1], 2, v[0:1]
	s_waitcnt lgkmcnt(0)
	v_mov_b32_e32 v3, s1
	v_add_co_u32_e32 v2, vcc, s0, v0
	v_addc_co_u32_e32 v3, vcc, v3, v1, vcc
	global_load_dword v2, v[2:3], off
	v_mov_b32_e32 v3, s3
	v_add_co_u32_e32 v0, vcc, s2, v0
	s_sub_i32 s0, s7, s6
	v_addc_co_u32_e32 v1, vcc, v3, v1, vcc
	s_waitcnt vmcnt(0)
	v_add_u32_e32 v2, s0, v2
	global_store_dword v[0:1], v2, off
.LBB0_2:
	s_endpgm
	.section	.rodata,"a",@progbits
	.p2align	6, 0x0
	.amdhsa_kernel _ZN9rocsparseL12csrgemm_copyILj1024EiiEEvT0_PKT1_PS2_21rocsparse_index_base_S6_
		.amdhsa_group_segment_fixed_size 0
		.amdhsa_private_segment_fixed_size 0
		.amdhsa_kernarg_size 32
		.amdhsa_user_sgpr_count 6
		.amdhsa_user_sgpr_private_segment_buffer 1
		.amdhsa_user_sgpr_dispatch_ptr 0
		.amdhsa_user_sgpr_queue_ptr 0
		.amdhsa_user_sgpr_kernarg_segment_ptr 1
		.amdhsa_user_sgpr_dispatch_id 0
		.amdhsa_user_sgpr_flat_scratch_init 0
		.amdhsa_user_sgpr_private_segment_size 0
		.amdhsa_uses_dynamic_stack 0
		.amdhsa_system_sgpr_private_segment_wavefront_offset 0
		.amdhsa_system_sgpr_workgroup_id_x 1
		.amdhsa_system_sgpr_workgroup_id_y 0
		.amdhsa_system_sgpr_workgroup_id_z 0
		.amdhsa_system_sgpr_workgroup_info 0
		.amdhsa_system_vgpr_workitem_id 0
		.amdhsa_next_free_vgpr 4
		.amdhsa_next_free_sgpr 8
		.amdhsa_reserve_vcc 1
		.amdhsa_reserve_flat_scratch 0
		.amdhsa_float_round_mode_32 0
		.amdhsa_float_round_mode_16_64 0
		.amdhsa_float_denorm_mode_32 3
		.amdhsa_float_denorm_mode_16_64 3
		.amdhsa_dx10_clamp 1
		.amdhsa_ieee_mode 1
		.amdhsa_fp16_overflow 0
		.amdhsa_exception_fp_ieee_invalid_op 0
		.amdhsa_exception_fp_denorm_src 0
		.amdhsa_exception_fp_ieee_div_zero 0
		.amdhsa_exception_fp_ieee_overflow 0
		.amdhsa_exception_fp_ieee_underflow 0
		.amdhsa_exception_fp_ieee_inexact 0
		.amdhsa_exception_int_div_zero 0
	.end_amdhsa_kernel
	.section	.text._ZN9rocsparseL12csrgemm_copyILj1024EiiEEvT0_PKT1_PS2_21rocsparse_index_base_S6_,"axG",@progbits,_ZN9rocsparseL12csrgemm_copyILj1024EiiEEvT0_PKT1_PS2_21rocsparse_index_base_S6_,comdat
.Lfunc_end0:
	.size	_ZN9rocsparseL12csrgemm_copyILj1024EiiEEvT0_PKT1_PS2_21rocsparse_index_base_S6_, .Lfunc_end0-_ZN9rocsparseL12csrgemm_copyILj1024EiiEEvT0_PKT1_PS2_21rocsparse_index_base_S6_
                                        ; -- End function
	.set _ZN9rocsparseL12csrgemm_copyILj1024EiiEEvT0_PKT1_PS2_21rocsparse_index_base_S6_.num_vgpr, 4
	.set _ZN9rocsparseL12csrgemm_copyILj1024EiiEEvT0_PKT1_PS2_21rocsparse_index_base_S6_.num_agpr, 0
	.set _ZN9rocsparseL12csrgemm_copyILj1024EiiEEvT0_PKT1_PS2_21rocsparse_index_base_S6_.numbered_sgpr, 8
	.set _ZN9rocsparseL12csrgemm_copyILj1024EiiEEvT0_PKT1_PS2_21rocsparse_index_base_S6_.num_named_barrier, 0
	.set _ZN9rocsparseL12csrgemm_copyILj1024EiiEEvT0_PKT1_PS2_21rocsparse_index_base_S6_.private_seg_size, 0
	.set _ZN9rocsparseL12csrgemm_copyILj1024EiiEEvT0_PKT1_PS2_21rocsparse_index_base_S6_.uses_vcc, 1
	.set _ZN9rocsparseL12csrgemm_copyILj1024EiiEEvT0_PKT1_PS2_21rocsparse_index_base_S6_.uses_flat_scratch, 0
	.set _ZN9rocsparseL12csrgemm_copyILj1024EiiEEvT0_PKT1_PS2_21rocsparse_index_base_S6_.has_dyn_sized_stack, 0
	.set _ZN9rocsparseL12csrgemm_copyILj1024EiiEEvT0_PKT1_PS2_21rocsparse_index_base_S6_.has_recursion, 0
	.set _ZN9rocsparseL12csrgemm_copyILj1024EiiEEvT0_PKT1_PS2_21rocsparse_index_base_S6_.has_indirect_call, 0
	.section	.AMDGPU.csdata,"",@progbits
; Kernel info:
; codeLenInByte = 120
; TotalNumSgprs: 12
; NumVgprs: 4
; ScratchSize: 0
; MemoryBound: 0
; FloatMode: 240
; IeeeMode: 1
; LDSByteSize: 0 bytes/workgroup (compile time only)
; SGPRBlocks: 1
; VGPRBlocks: 0
; NumSGPRsForWavesPerEU: 12
; NumVGPRsForWavesPerEU: 4
; Occupancy: 10
; WaveLimiterHint : 0
; COMPUTE_PGM_RSRC2:SCRATCH_EN: 0
; COMPUTE_PGM_RSRC2:USER_SGPR: 6
; COMPUTE_PGM_RSRC2:TRAP_HANDLER: 0
; COMPUTE_PGM_RSRC2:TGID_X_EN: 1
; COMPUTE_PGM_RSRC2:TGID_Y_EN: 0
; COMPUTE_PGM_RSRC2:TGID_Z_EN: 0
; COMPUTE_PGM_RSRC2:TIDIG_COMP_CNT: 0
	.section	.text._ZN9rocsparseL18csrgemm_copy_scaleILj1024EifEEvT0_NS_24const_host_device_scalarIT1_EEPKS3_PS3_b,"axG",@progbits,_ZN9rocsparseL18csrgemm_copy_scaleILj1024EifEEvT0_NS_24const_host_device_scalarIT1_EEPKS3_PS3_b,comdat
	.globl	_ZN9rocsparseL18csrgemm_copy_scaleILj1024EifEEvT0_NS_24const_host_device_scalarIT1_EEPKS3_PS3_b ; -- Begin function _ZN9rocsparseL18csrgemm_copy_scaleILj1024EifEEvT0_NS_24const_host_device_scalarIT1_EEPKS3_PS3_b
	.p2align	8
	.type	_ZN9rocsparseL18csrgemm_copy_scaleILj1024EifEEvT0_NS_24const_host_device_scalarIT1_EEPKS3_PS3_b,@function
_ZN9rocsparseL18csrgemm_copy_scaleILj1024EifEEvT0_NS_24const_host_device_scalarIT1_EEPKS3_PS3_b: ; @_ZN9rocsparseL18csrgemm_copy_scaleILj1024EifEEvT0_NS_24const_host_device_scalarIT1_EEPKS3_PS3_b
; %bb.0:
	s_load_dword s0, s[4:5], 0x0
	v_lshl_or_b32 v0, s6, 10, v0
	s_waitcnt lgkmcnt(0)
	v_cmp_gt_i32_e32 vcc, s0, v0
	s_and_saveexec_b64 s[0:1], vcc
	s_cbranch_execz .LBB1_4
; %bb.1:
	s_load_dword s8, s[4:5], 0x20
	s_load_dwordx4 s[0:3], s[4:5], 0x8
	s_load_dwordx2 s[6:7], s[4:5], 0x18
	s_waitcnt lgkmcnt(0)
	s_bitcmp1_b32 s8, 0
	s_cselect_b64 s[4:5], -1, 0
	s_and_b64 vcc, exec, s[4:5]
	s_cbranch_vccnz .LBB1_3
; %bb.2:
	s_load_dword s0, s[0:1], 0x0
.LBB1_3:
	v_ashrrev_i32_e32 v1, 31, v0
	v_lshlrev_b64 v[0:1], 2, v[0:1]
	v_mov_b32_e32 v3, s3
	v_add_co_u32_e32 v2, vcc, s2, v0
	v_addc_co_u32_e32 v3, vcc, v3, v1, vcc
	global_load_dword v2, v[2:3], off
	v_mov_b32_e32 v3, s7
	v_add_co_u32_e32 v0, vcc, s6, v0
	v_addc_co_u32_e32 v1, vcc, v3, v1, vcc
	s_waitcnt vmcnt(0) lgkmcnt(0)
	v_mul_f32_e32 v2, s0, v2
	global_store_dword v[0:1], v2, off
.LBB1_4:
	s_endpgm
	.section	.rodata,"a",@progbits
	.p2align	6, 0x0
	.amdhsa_kernel _ZN9rocsparseL18csrgemm_copy_scaleILj1024EifEEvT0_NS_24const_host_device_scalarIT1_EEPKS3_PS3_b
		.amdhsa_group_segment_fixed_size 0
		.amdhsa_private_segment_fixed_size 0
		.amdhsa_kernarg_size 36
		.amdhsa_user_sgpr_count 6
		.amdhsa_user_sgpr_private_segment_buffer 1
		.amdhsa_user_sgpr_dispatch_ptr 0
		.amdhsa_user_sgpr_queue_ptr 0
		.amdhsa_user_sgpr_kernarg_segment_ptr 1
		.amdhsa_user_sgpr_dispatch_id 0
		.amdhsa_user_sgpr_flat_scratch_init 0
		.amdhsa_user_sgpr_private_segment_size 0
		.amdhsa_uses_dynamic_stack 0
		.amdhsa_system_sgpr_private_segment_wavefront_offset 0
		.amdhsa_system_sgpr_workgroup_id_x 1
		.amdhsa_system_sgpr_workgroup_id_y 0
		.amdhsa_system_sgpr_workgroup_id_z 0
		.amdhsa_system_sgpr_workgroup_info 0
		.amdhsa_system_vgpr_workitem_id 0
		.amdhsa_next_free_vgpr 4
		.amdhsa_next_free_sgpr 9
		.amdhsa_reserve_vcc 1
		.amdhsa_reserve_flat_scratch 0
		.amdhsa_float_round_mode_32 0
		.amdhsa_float_round_mode_16_64 0
		.amdhsa_float_denorm_mode_32 3
		.amdhsa_float_denorm_mode_16_64 3
		.amdhsa_dx10_clamp 1
		.amdhsa_ieee_mode 1
		.amdhsa_fp16_overflow 0
		.amdhsa_exception_fp_ieee_invalid_op 0
		.amdhsa_exception_fp_denorm_src 0
		.amdhsa_exception_fp_ieee_div_zero 0
		.amdhsa_exception_fp_ieee_overflow 0
		.amdhsa_exception_fp_ieee_underflow 0
		.amdhsa_exception_fp_ieee_inexact 0
		.amdhsa_exception_int_div_zero 0
	.end_amdhsa_kernel
	.section	.text._ZN9rocsparseL18csrgemm_copy_scaleILj1024EifEEvT0_NS_24const_host_device_scalarIT1_EEPKS3_PS3_b,"axG",@progbits,_ZN9rocsparseL18csrgemm_copy_scaleILj1024EifEEvT0_NS_24const_host_device_scalarIT1_EEPKS3_PS3_b,comdat
.Lfunc_end1:
	.size	_ZN9rocsparseL18csrgemm_copy_scaleILj1024EifEEvT0_NS_24const_host_device_scalarIT1_EEPKS3_PS3_b, .Lfunc_end1-_ZN9rocsparseL18csrgemm_copy_scaleILj1024EifEEvT0_NS_24const_host_device_scalarIT1_EEPKS3_PS3_b
                                        ; -- End function
	.set _ZN9rocsparseL18csrgemm_copy_scaleILj1024EifEEvT0_NS_24const_host_device_scalarIT1_EEPKS3_PS3_b.num_vgpr, 4
	.set _ZN9rocsparseL18csrgemm_copy_scaleILj1024EifEEvT0_NS_24const_host_device_scalarIT1_EEPKS3_PS3_b.num_agpr, 0
	.set _ZN9rocsparseL18csrgemm_copy_scaleILj1024EifEEvT0_NS_24const_host_device_scalarIT1_EEPKS3_PS3_b.numbered_sgpr, 9
	.set _ZN9rocsparseL18csrgemm_copy_scaleILj1024EifEEvT0_NS_24const_host_device_scalarIT1_EEPKS3_PS3_b.num_named_barrier, 0
	.set _ZN9rocsparseL18csrgemm_copy_scaleILj1024EifEEvT0_NS_24const_host_device_scalarIT1_EEPKS3_PS3_b.private_seg_size, 0
	.set _ZN9rocsparseL18csrgemm_copy_scaleILj1024EifEEvT0_NS_24const_host_device_scalarIT1_EEPKS3_PS3_b.uses_vcc, 1
	.set _ZN9rocsparseL18csrgemm_copy_scaleILj1024EifEEvT0_NS_24const_host_device_scalarIT1_EEPKS3_PS3_b.uses_flat_scratch, 0
	.set _ZN9rocsparseL18csrgemm_copy_scaleILj1024EifEEvT0_NS_24const_host_device_scalarIT1_EEPKS3_PS3_b.has_dyn_sized_stack, 0
	.set _ZN9rocsparseL18csrgemm_copy_scaleILj1024EifEEvT0_NS_24const_host_device_scalarIT1_EEPKS3_PS3_b.has_recursion, 0
	.set _ZN9rocsparseL18csrgemm_copy_scaleILj1024EifEEvT0_NS_24const_host_device_scalarIT1_EEPKS3_PS3_b.has_indirect_call, 0
	.section	.AMDGPU.csdata,"",@progbits
; Kernel info:
; codeLenInByte = 148
; TotalNumSgprs: 13
; NumVgprs: 4
; ScratchSize: 0
; MemoryBound: 0
; FloatMode: 240
; IeeeMode: 1
; LDSByteSize: 0 bytes/workgroup (compile time only)
; SGPRBlocks: 1
; VGPRBlocks: 0
; NumSGPRsForWavesPerEU: 13
; NumVGPRsForWavesPerEU: 4
; Occupancy: 10
; WaveLimiterHint : 0
; COMPUTE_PGM_RSRC2:SCRATCH_EN: 0
; COMPUTE_PGM_RSRC2:USER_SGPR: 6
; COMPUTE_PGM_RSRC2:TRAP_HANDLER: 0
; COMPUTE_PGM_RSRC2:TGID_X_EN: 1
; COMPUTE_PGM_RSRC2:TGID_Y_EN: 0
; COMPUTE_PGM_RSRC2:TGID_Z_EN: 0
; COMPUTE_PGM_RSRC2:TIDIG_COMP_CNT: 0
	.section	.text._ZN9rocsparseL18csrgemm_copy_scaleILj1024EidEEvT0_NS_24const_host_device_scalarIT1_EEPKS3_PS3_b,"axG",@progbits,_ZN9rocsparseL18csrgemm_copy_scaleILj1024EidEEvT0_NS_24const_host_device_scalarIT1_EEPKS3_PS3_b,comdat
	.globl	_ZN9rocsparseL18csrgemm_copy_scaleILj1024EidEEvT0_NS_24const_host_device_scalarIT1_EEPKS3_PS3_b ; -- Begin function _ZN9rocsparseL18csrgemm_copy_scaleILj1024EidEEvT0_NS_24const_host_device_scalarIT1_EEPKS3_PS3_b
	.p2align	8
	.type	_ZN9rocsparseL18csrgemm_copy_scaleILj1024EidEEvT0_NS_24const_host_device_scalarIT1_EEPKS3_PS3_b,@function
_ZN9rocsparseL18csrgemm_copy_scaleILj1024EidEEvT0_NS_24const_host_device_scalarIT1_EEPKS3_PS3_b: ; @_ZN9rocsparseL18csrgemm_copy_scaleILj1024EidEEvT0_NS_24const_host_device_scalarIT1_EEPKS3_PS3_b
; %bb.0:
	s_load_dword s2, s[4:5], 0x20
	s_load_dwordx2 s[0:1], s[4:5], 0x8
	s_waitcnt lgkmcnt(0)
	s_bitcmp1_b32 s2, 0
	s_cselect_b64 s[2:3], -1, 0
	v_mov_b32_e32 v2, s1
	s_and_b64 vcc, exec, s[2:3]
	v_mov_b32_e32 v1, s0
	s_cbranch_vccnz .LBB2_2
; %bb.1:
	v_mov_b32_e32 v2, s1
	v_mov_b32_e32 v1, s0
	flat_load_dwordx2 v[1:2], v[1:2]
.LBB2_2:
	s_load_dword s0, s[4:5], 0x0
	v_lshl_or_b32 v3, s6, 10, v0
	s_waitcnt lgkmcnt(0)
	v_cmp_gt_i32_e32 vcc, s0, v3
	s_and_saveexec_b64 s[0:1], vcc
	s_cbranch_execz .LBB2_4
; %bb.3:
	s_load_dwordx4 s[0:3], s[4:5], 0x10
	v_ashrrev_i32_e32 v4, 31, v3
	v_lshlrev_b64 v[3:4], 3, v[3:4]
	s_waitcnt lgkmcnt(0)
	v_mov_b32_e32 v0, s1
	v_add_co_u32_e32 v5, vcc, s0, v3
	v_addc_co_u32_e32 v6, vcc, v0, v4, vcc
	global_load_dwordx2 v[5:6], v[5:6], off
	s_waitcnt vmcnt(0)
	v_mul_f64 v[0:1], v[1:2], v[5:6]
	v_mov_b32_e32 v5, s3
	v_add_co_u32_e32 v2, vcc, s2, v3
	v_addc_co_u32_e32 v3, vcc, v5, v4, vcc
	global_store_dwordx2 v[2:3], v[0:1], off
.LBB2_4:
	s_endpgm
	.section	.rodata,"a",@progbits
	.p2align	6, 0x0
	.amdhsa_kernel _ZN9rocsparseL18csrgemm_copy_scaleILj1024EidEEvT0_NS_24const_host_device_scalarIT1_EEPKS3_PS3_b
		.amdhsa_group_segment_fixed_size 0
		.amdhsa_private_segment_fixed_size 0
		.amdhsa_kernarg_size 36
		.amdhsa_user_sgpr_count 6
		.amdhsa_user_sgpr_private_segment_buffer 1
		.amdhsa_user_sgpr_dispatch_ptr 0
		.amdhsa_user_sgpr_queue_ptr 0
		.amdhsa_user_sgpr_kernarg_segment_ptr 1
		.amdhsa_user_sgpr_dispatch_id 0
		.amdhsa_user_sgpr_flat_scratch_init 0
		.amdhsa_user_sgpr_private_segment_size 0
		.amdhsa_uses_dynamic_stack 0
		.amdhsa_system_sgpr_private_segment_wavefront_offset 0
		.amdhsa_system_sgpr_workgroup_id_x 1
		.amdhsa_system_sgpr_workgroup_id_y 0
		.amdhsa_system_sgpr_workgroup_id_z 0
		.amdhsa_system_sgpr_workgroup_info 0
		.amdhsa_system_vgpr_workitem_id 0
		.amdhsa_next_free_vgpr 7
		.amdhsa_next_free_sgpr 7
		.amdhsa_reserve_vcc 1
		.amdhsa_reserve_flat_scratch 0
		.amdhsa_float_round_mode_32 0
		.amdhsa_float_round_mode_16_64 0
		.amdhsa_float_denorm_mode_32 3
		.amdhsa_float_denorm_mode_16_64 3
		.amdhsa_dx10_clamp 1
		.amdhsa_ieee_mode 1
		.amdhsa_fp16_overflow 0
		.amdhsa_exception_fp_ieee_invalid_op 0
		.amdhsa_exception_fp_denorm_src 0
		.amdhsa_exception_fp_ieee_div_zero 0
		.amdhsa_exception_fp_ieee_overflow 0
		.amdhsa_exception_fp_ieee_underflow 0
		.amdhsa_exception_fp_ieee_inexact 0
		.amdhsa_exception_int_div_zero 0
	.end_amdhsa_kernel
	.section	.text._ZN9rocsparseL18csrgemm_copy_scaleILj1024EidEEvT0_NS_24const_host_device_scalarIT1_EEPKS3_PS3_b,"axG",@progbits,_ZN9rocsparseL18csrgemm_copy_scaleILj1024EidEEvT0_NS_24const_host_device_scalarIT1_EEPKS3_PS3_b,comdat
.Lfunc_end2:
	.size	_ZN9rocsparseL18csrgemm_copy_scaleILj1024EidEEvT0_NS_24const_host_device_scalarIT1_EEPKS3_PS3_b, .Lfunc_end2-_ZN9rocsparseL18csrgemm_copy_scaleILj1024EidEEvT0_NS_24const_host_device_scalarIT1_EEPKS3_PS3_b
                                        ; -- End function
	.set _ZN9rocsparseL18csrgemm_copy_scaleILj1024EidEEvT0_NS_24const_host_device_scalarIT1_EEPKS3_PS3_b.num_vgpr, 7
	.set _ZN9rocsparseL18csrgemm_copy_scaleILj1024EidEEvT0_NS_24const_host_device_scalarIT1_EEPKS3_PS3_b.num_agpr, 0
	.set _ZN9rocsparseL18csrgemm_copy_scaleILj1024EidEEvT0_NS_24const_host_device_scalarIT1_EEPKS3_PS3_b.numbered_sgpr, 7
	.set _ZN9rocsparseL18csrgemm_copy_scaleILj1024EidEEvT0_NS_24const_host_device_scalarIT1_EEPKS3_PS3_b.num_named_barrier, 0
	.set _ZN9rocsparseL18csrgemm_copy_scaleILj1024EidEEvT0_NS_24const_host_device_scalarIT1_EEPKS3_PS3_b.private_seg_size, 0
	.set _ZN9rocsparseL18csrgemm_copy_scaleILj1024EidEEvT0_NS_24const_host_device_scalarIT1_EEPKS3_PS3_b.uses_vcc, 1
	.set _ZN9rocsparseL18csrgemm_copy_scaleILj1024EidEEvT0_NS_24const_host_device_scalarIT1_EEPKS3_PS3_b.uses_flat_scratch, 0
	.set _ZN9rocsparseL18csrgemm_copy_scaleILj1024EidEEvT0_NS_24const_host_device_scalarIT1_EEPKS3_PS3_b.has_dyn_sized_stack, 0
	.set _ZN9rocsparseL18csrgemm_copy_scaleILj1024EidEEvT0_NS_24const_host_device_scalarIT1_EEPKS3_PS3_b.has_recursion, 0
	.set _ZN9rocsparseL18csrgemm_copy_scaleILj1024EidEEvT0_NS_24const_host_device_scalarIT1_EEPKS3_PS3_b.has_indirect_call, 0
	.section	.AMDGPU.csdata,"",@progbits
; Kernel info:
; codeLenInByte = 172
; TotalNumSgprs: 11
; NumVgprs: 7
; ScratchSize: 0
; MemoryBound: 0
; FloatMode: 240
; IeeeMode: 1
; LDSByteSize: 0 bytes/workgroup (compile time only)
; SGPRBlocks: 1
; VGPRBlocks: 1
; NumSGPRsForWavesPerEU: 11
; NumVGPRsForWavesPerEU: 7
; Occupancy: 10
; WaveLimiterHint : 0
; COMPUTE_PGM_RSRC2:SCRATCH_EN: 0
; COMPUTE_PGM_RSRC2:USER_SGPR: 6
; COMPUTE_PGM_RSRC2:TRAP_HANDLER: 0
; COMPUTE_PGM_RSRC2:TGID_X_EN: 1
; COMPUTE_PGM_RSRC2:TGID_Y_EN: 0
; COMPUTE_PGM_RSRC2:TGID_Z_EN: 0
; COMPUTE_PGM_RSRC2:TIDIG_COMP_CNT: 0
	.section	.text._ZN9rocsparseL18csrgemm_copy_scaleILj1024Ei21rocsparse_complex_numIfEEEvT0_NS_24const_host_device_scalarIT1_EEPKS5_PS5_b,"axG",@progbits,_ZN9rocsparseL18csrgemm_copy_scaleILj1024Ei21rocsparse_complex_numIfEEEvT0_NS_24const_host_device_scalarIT1_EEPKS5_PS5_b,comdat
	.globl	_ZN9rocsparseL18csrgemm_copy_scaleILj1024Ei21rocsparse_complex_numIfEEEvT0_NS_24const_host_device_scalarIT1_EEPKS5_PS5_b ; -- Begin function _ZN9rocsparseL18csrgemm_copy_scaleILj1024Ei21rocsparse_complex_numIfEEEvT0_NS_24const_host_device_scalarIT1_EEPKS5_PS5_b
	.p2align	8
	.type	_ZN9rocsparseL18csrgemm_copy_scaleILj1024Ei21rocsparse_complex_numIfEEEvT0_NS_24const_host_device_scalarIT1_EEPKS5_PS5_b,@function
_ZN9rocsparseL18csrgemm_copy_scaleILj1024Ei21rocsparse_complex_numIfEEEvT0_NS_24const_host_device_scalarIT1_EEPKS5_PS5_b: ; @_ZN9rocsparseL18csrgemm_copy_scaleILj1024Ei21rocsparse_complex_numIfEEEvT0_NS_24const_host_device_scalarIT1_EEPKS5_PS5_b
; %bb.0:
	s_load_dword s2, s[4:5], 0x20
	s_load_dwordx2 s[0:1], s[4:5], 0x8
	s_waitcnt lgkmcnt(0)
	s_bitcmp1_b32 s2, 0
	s_cselect_b64 s[8:9], -1, 0
	s_xor_b64 s[2:3], s[8:9], -1
	s_and_b64 vcc, exec, s[8:9]
	s_mov_b32 s7, s0
	s_cbranch_vccnz .LBB3_2
; %bb.1:
	s_load_dword s7, s[0:1], 0x0
.LBB3_2:
	s_andn2_b64 vcc, exec, s[2:3]
	s_cbranch_vccnz .LBB3_4
; %bb.3:
	s_load_dword s1, s[0:1], 0x4
.LBB3_4:
	s_nop 0
	s_load_dword s0, s[4:5], 0x0
	v_lshl_or_b32 v0, s6, 10, v0
	s_waitcnt lgkmcnt(0)
	v_cmp_gt_i32_e32 vcc, s0, v0
	s_and_saveexec_b64 s[2:3], vcc
	s_cbranch_execz .LBB3_6
; %bb.5:
	s_load_dwordx4 s[8:11], s[4:5], 0x10
	v_ashrrev_i32_e32 v1, 31, v0
	v_lshlrev_b64 v[0:1], 3, v[0:1]
	s_waitcnt lgkmcnt(0)
	v_mov_b32_e32 v3, s9
	v_add_co_u32_e32 v2, vcc, s8, v0
	v_addc_co_u32_e32 v3, vcc, v3, v1, vcc
	global_load_dwordx2 v[2:3], v[2:3], off
	v_mov_b32_e32 v6, s11
	v_add_co_u32_e32 v0, vcc, s10, v0
	v_addc_co_u32_e32 v1, vcc, v6, v1, vcc
	s_waitcnt vmcnt(0)
	v_mul_f32_e64 v4, v3, -s1
	v_mul_f32_e32 v5, s7, v3
	v_fmac_f32_e32 v4, s7, v2
	v_fmac_f32_e32 v5, s1, v2
	global_store_dwordx2 v[0:1], v[4:5], off
.LBB3_6:
	s_endpgm
	.section	.rodata,"a",@progbits
	.p2align	6, 0x0
	.amdhsa_kernel _ZN9rocsparseL18csrgemm_copy_scaleILj1024Ei21rocsparse_complex_numIfEEEvT0_NS_24const_host_device_scalarIT1_EEPKS5_PS5_b
		.amdhsa_group_segment_fixed_size 0
		.amdhsa_private_segment_fixed_size 0
		.amdhsa_kernarg_size 36
		.amdhsa_user_sgpr_count 6
		.amdhsa_user_sgpr_private_segment_buffer 1
		.amdhsa_user_sgpr_dispatch_ptr 0
		.amdhsa_user_sgpr_queue_ptr 0
		.amdhsa_user_sgpr_kernarg_segment_ptr 1
		.amdhsa_user_sgpr_dispatch_id 0
		.amdhsa_user_sgpr_flat_scratch_init 0
		.amdhsa_user_sgpr_private_segment_size 0
		.amdhsa_uses_dynamic_stack 0
		.amdhsa_system_sgpr_private_segment_wavefront_offset 0
		.amdhsa_system_sgpr_workgroup_id_x 1
		.amdhsa_system_sgpr_workgroup_id_y 0
		.amdhsa_system_sgpr_workgroup_id_z 0
		.amdhsa_system_sgpr_workgroup_info 0
		.amdhsa_system_vgpr_workitem_id 0
		.amdhsa_next_free_vgpr 7
		.amdhsa_next_free_sgpr 12
		.amdhsa_reserve_vcc 1
		.amdhsa_reserve_flat_scratch 0
		.amdhsa_float_round_mode_32 0
		.amdhsa_float_round_mode_16_64 0
		.amdhsa_float_denorm_mode_32 3
		.amdhsa_float_denorm_mode_16_64 3
		.amdhsa_dx10_clamp 1
		.amdhsa_ieee_mode 1
		.amdhsa_fp16_overflow 0
		.amdhsa_exception_fp_ieee_invalid_op 0
		.amdhsa_exception_fp_denorm_src 0
		.amdhsa_exception_fp_ieee_div_zero 0
		.amdhsa_exception_fp_ieee_overflow 0
		.amdhsa_exception_fp_ieee_underflow 0
		.amdhsa_exception_fp_ieee_inexact 0
		.amdhsa_exception_int_div_zero 0
	.end_amdhsa_kernel
	.section	.text._ZN9rocsparseL18csrgemm_copy_scaleILj1024Ei21rocsparse_complex_numIfEEEvT0_NS_24const_host_device_scalarIT1_EEPKS5_PS5_b,"axG",@progbits,_ZN9rocsparseL18csrgemm_copy_scaleILj1024Ei21rocsparse_complex_numIfEEEvT0_NS_24const_host_device_scalarIT1_EEPKS5_PS5_b,comdat
.Lfunc_end3:
	.size	_ZN9rocsparseL18csrgemm_copy_scaleILj1024Ei21rocsparse_complex_numIfEEEvT0_NS_24const_host_device_scalarIT1_EEPKS5_PS5_b, .Lfunc_end3-_ZN9rocsparseL18csrgemm_copy_scaleILj1024Ei21rocsparse_complex_numIfEEEvT0_NS_24const_host_device_scalarIT1_EEPKS5_PS5_b
                                        ; -- End function
	.set _ZN9rocsparseL18csrgemm_copy_scaleILj1024Ei21rocsparse_complex_numIfEEEvT0_NS_24const_host_device_scalarIT1_EEPKS5_PS5_b.num_vgpr, 7
	.set _ZN9rocsparseL18csrgemm_copy_scaleILj1024Ei21rocsparse_complex_numIfEEEvT0_NS_24const_host_device_scalarIT1_EEPKS5_PS5_b.num_agpr, 0
	.set _ZN9rocsparseL18csrgemm_copy_scaleILj1024Ei21rocsparse_complex_numIfEEEvT0_NS_24const_host_device_scalarIT1_EEPKS5_PS5_b.numbered_sgpr, 12
	.set _ZN9rocsparseL18csrgemm_copy_scaleILj1024Ei21rocsparse_complex_numIfEEEvT0_NS_24const_host_device_scalarIT1_EEPKS5_PS5_b.num_named_barrier, 0
	.set _ZN9rocsparseL18csrgemm_copy_scaleILj1024Ei21rocsparse_complex_numIfEEEvT0_NS_24const_host_device_scalarIT1_EEPKS5_PS5_b.private_seg_size, 0
	.set _ZN9rocsparseL18csrgemm_copy_scaleILj1024Ei21rocsparse_complex_numIfEEEvT0_NS_24const_host_device_scalarIT1_EEPKS5_PS5_b.uses_vcc, 1
	.set _ZN9rocsparseL18csrgemm_copy_scaleILj1024Ei21rocsparse_complex_numIfEEEvT0_NS_24const_host_device_scalarIT1_EEPKS5_PS5_b.uses_flat_scratch, 0
	.set _ZN9rocsparseL18csrgemm_copy_scaleILj1024Ei21rocsparse_complex_numIfEEEvT0_NS_24const_host_device_scalarIT1_EEPKS5_PS5_b.has_dyn_sized_stack, 0
	.set _ZN9rocsparseL18csrgemm_copy_scaleILj1024Ei21rocsparse_complex_numIfEEEvT0_NS_24const_host_device_scalarIT1_EEPKS5_PS5_b.has_recursion, 0
	.set _ZN9rocsparseL18csrgemm_copy_scaleILj1024Ei21rocsparse_complex_numIfEEEvT0_NS_24const_host_device_scalarIT1_EEPKS5_PS5_b.has_indirect_call, 0
	.section	.AMDGPU.csdata,"",@progbits
; Kernel info:
; codeLenInByte = 196
; TotalNumSgprs: 16
; NumVgprs: 7
; ScratchSize: 0
; MemoryBound: 0
; FloatMode: 240
; IeeeMode: 1
; LDSByteSize: 0 bytes/workgroup (compile time only)
; SGPRBlocks: 1
; VGPRBlocks: 1
; NumSGPRsForWavesPerEU: 16
; NumVGPRsForWavesPerEU: 7
; Occupancy: 10
; WaveLimiterHint : 0
; COMPUTE_PGM_RSRC2:SCRATCH_EN: 0
; COMPUTE_PGM_RSRC2:USER_SGPR: 6
; COMPUTE_PGM_RSRC2:TRAP_HANDLER: 0
; COMPUTE_PGM_RSRC2:TGID_X_EN: 1
; COMPUTE_PGM_RSRC2:TGID_Y_EN: 0
; COMPUTE_PGM_RSRC2:TGID_Z_EN: 0
; COMPUTE_PGM_RSRC2:TIDIG_COMP_CNT: 0
	.section	.text._ZN9rocsparseL18csrgemm_copy_scaleILj1024Ei21rocsparse_complex_numIdEEEvT0_NS_24const_host_device_scalarIT1_EEPKS5_PS5_b,"axG",@progbits,_ZN9rocsparseL18csrgemm_copy_scaleILj1024Ei21rocsparse_complex_numIdEEEvT0_NS_24const_host_device_scalarIT1_EEPKS5_PS5_b,comdat
	.globl	_ZN9rocsparseL18csrgemm_copy_scaleILj1024Ei21rocsparse_complex_numIdEEEvT0_NS_24const_host_device_scalarIT1_EEPKS5_PS5_b ; -- Begin function _ZN9rocsparseL18csrgemm_copy_scaleILj1024Ei21rocsparse_complex_numIdEEEvT0_NS_24const_host_device_scalarIT1_EEPKS5_PS5_b
	.p2align	8
	.type	_ZN9rocsparseL18csrgemm_copy_scaleILj1024Ei21rocsparse_complex_numIdEEEvT0_NS_24const_host_device_scalarIT1_EEPKS5_PS5_b,@function
_ZN9rocsparseL18csrgemm_copy_scaleILj1024Ei21rocsparse_complex_numIdEEEvT0_NS_24const_host_device_scalarIT1_EEPKS5_PS5_b: ; @_ZN9rocsparseL18csrgemm_copy_scaleILj1024Ei21rocsparse_complex_numIdEEEvT0_NS_24const_host_device_scalarIT1_EEPKS5_PS5_b
; %bb.0:
	s_add_u32 flat_scratch_lo, s6, s9
	s_addc_u32 flat_scratch_hi, s7, 0
	s_mov_b64 s[6:7], src_private_base
	s_load_dword s6, s[4:5], 0x28
	s_load_dwordx4 s[12:15], s[4:5], 0x8
	s_add_u32 s0, s0, s9
	s_addc_u32 s1, s1, 0
	s_waitcnt lgkmcnt(0)
	s_bitcmp1_b32 s6, 0
	s_cselect_b64 s[10:11], -1, 0
	v_mov_b32_e32 v1, s13
	s_and_b64 vcc, s[10:11], exec
	buffer_store_dword v1, off, s[0:3], 0 offset:4
	v_mov_b32_e32 v1, s12
	s_cselect_b32 s6, s7, s13
	s_cselect_b32 s7, 0, s12
	buffer_store_dword v1, off, s[0:3], 0
	v_mov_b32_e32 v1, s7
	v_mov_b32_e32 v2, s6
	flat_load_dwordx2 v[1:2], v[1:2]
	v_mov_b32_e32 v3, s14
	v_mov_b32_e32 v4, s15
	s_cbranch_vccnz .LBB4_2
; %bb.1:
	v_mov_b32_e32 v3, s12
	v_mov_b32_e32 v4, s13
	flat_load_dwordx2 v[3:4], v[3:4] offset:8
.LBB4_2:
	s_load_dword s6, s[4:5], 0x0
	v_lshl_or_b32 v5, s8, 10, v0
	s_waitcnt lgkmcnt(0)
	v_cmp_gt_i32_e32 vcc, s6, v5
	s_and_saveexec_b64 s[6:7], vcc
	s_cbranch_execz .LBB4_4
; %bb.3:
	s_load_dwordx4 s[8:11], s[4:5], 0x18
	v_ashrrev_i32_e32 v6, 31, v5
	v_lshlrev_b64 v[9:10], 4, v[5:6]
	s_waitcnt lgkmcnt(0)
	v_mov_b32_e32 v0, s9
	v_add_co_u32_e32 v5, vcc, s8, v9
	v_addc_co_u32_e32 v6, vcc, v0, v10, vcc
	global_load_dwordx4 v[5:8], v[5:6], off
	s_waitcnt vmcnt(0)
	v_mul_f64 v[11:12], v[7:8], -v[3:4]
	v_mul_f64 v[7:8], v[1:2], v[7:8]
	v_fma_f64 v[0:1], v[1:2], v[5:6], v[11:12]
	v_fma_f64 v[2:3], v[3:4], v[5:6], v[7:8]
	v_mov_b32_e32 v5, s11
	v_add_co_u32_e32 v4, vcc, s10, v9
	v_addc_co_u32_e32 v5, vcc, v5, v10, vcc
	global_store_dwordx4 v[4:5], v[0:3], off
.LBB4_4:
	s_endpgm
	.section	.rodata,"a",@progbits
	.p2align	6, 0x0
	.amdhsa_kernel _ZN9rocsparseL18csrgemm_copy_scaleILj1024Ei21rocsparse_complex_numIdEEEvT0_NS_24const_host_device_scalarIT1_EEPKS5_PS5_b
		.amdhsa_group_segment_fixed_size 0
		.amdhsa_private_segment_fixed_size 16
		.amdhsa_kernarg_size 44
		.amdhsa_user_sgpr_count 8
		.amdhsa_user_sgpr_private_segment_buffer 1
		.amdhsa_user_sgpr_dispatch_ptr 0
		.amdhsa_user_sgpr_queue_ptr 0
		.amdhsa_user_sgpr_kernarg_segment_ptr 1
		.amdhsa_user_sgpr_dispatch_id 0
		.amdhsa_user_sgpr_flat_scratch_init 1
		.amdhsa_user_sgpr_private_segment_size 0
		.amdhsa_uses_dynamic_stack 0
		.amdhsa_system_sgpr_private_segment_wavefront_offset 1
		.amdhsa_system_sgpr_workgroup_id_x 1
		.amdhsa_system_sgpr_workgroup_id_y 0
		.amdhsa_system_sgpr_workgroup_id_z 0
		.amdhsa_system_sgpr_workgroup_info 0
		.amdhsa_system_vgpr_workitem_id 0
		.amdhsa_next_free_vgpr 13
		.amdhsa_next_free_sgpr 16
		.amdhsa_reserve_vcc 1
		.amdhsa_reserve_flat_scratch 1
		.amdhsa_float_round_mode_32 0
		.amdhsa_float_round_mode_16_64 0
		.amdhsa_float_denorm_mode_32 3
		.amdhsa_float_denorm_mode_16_64 3
		.amdhsa_dx10_clamp 1
		.amdhsa_ieee_mode 1
		.amdhsa_fp16_overflow 0
		.amdhsa_exception_fp_ieee_invalid_op 0
		.amdhsa_exception_fp_denorm_src 0
		.amdhsa_exception_fp_ieee_div_zero 0
		.amdhsa_exception_fp_ieee_overflow 0
		.amdhsa_exception_fp_ieee_underflow 0
		.amdhsa_exception_fp_ieee_inexact 0
		.amdhsa_exception_int_div_zero 0
	.end_amdhsa_kernel
	.section	.text._ZN9rocsparseL18csrgemm_copy_scaleILj1024Ei21rocsparse_complex_numIdEEEvT0_NS_24const_host_device_scalarIT1_EEPKS5_PS5_b,"axG",@progbits,_ZN9rocsparseL18csrgemm_copy_scaleILj1024Ei21rocsparse_complex_numIdEEEvT0_NS_24const_host_device_scalarIT1_EEPKS5_PS5_b,comdat
.Lfunc_end4:
	.size	_ZN9rocsparseL18csrgemm_copy_scaleILj1024Ei21rocsparse_complex_numIdEEEvT0_NS_24const_host_device_scalarIT1_EEPKS5_PS5_b, .Lfunc_end4-_ZN9rocsparseL18csrgemm_copy_scaleILj1024Ei21rocsparse_complex_numIdEEEvT0_NS_24const_host_device_scalarIT1_EEPKS5_PS5_b
                                        ; -- End function
	.set _ZN9rocsparseL18csrgemm_copy_scaleILj1024Ei21rocsparse_complex_numIdEEEvT0_NS_24const_host_device_scalarIT1_EEPKS5_PS5_b.num_vgpr, 13
	.set _ZN9rocsparseL18csrgemm_copy_scaleILj1024Ei21rocsparse_complex_numIdEEEvT0_NS_24const_host_device_scalarIT1_EEPKS5_PS5_b.num_agpr, 0
	.set _ZN9rocsparseL18csrgemm_copy_scaleILj1024Ei21rocsparse_complex_numIdEEEvT0_NS_24const_host_device_scalarIT1_EEPKS5_PS5_b.numbered_sgpr, 16
	.set _ZN9rocsparseL18csrgemm_copy_scaleILj1024Ei21rocsparse_complex_numIdEEEvT0_NS_24const_host_device_scalarIT1_EEPKS5_PS5_b.num_named_barrier, 0
	.set _ZN9rocsparseL18csrgemm_copy_scaleILj1024Ei21rocsparse_complex_numIdEEEvT0_NS_24const_host_device_scalarIT1_EEPKS5_PS5_b.private_seg_size, 16
	.set _ZN9rocsparseL18csrgemm_copy_scaleILj1024Ei21rocsparse_complex_numIdEEEvT0_NS_24const_host_device_scalarIT1_EEPKS5_PS5_b.uses_vcc, 1
	.set _ZN9rocsparseL18csrgemm_copy_scaleILj1024Ei21rocsparse_complex_numIdEEEvT0_NS_24const_host_device_scalarIT1_EEPKS5_PS5_b.uses_flat_scratch, 1
	.set _ZN9rocsparseL18csrgemm_copy_scaleILj1024Ei21rocsparse_complex_numIdEEEvT0_NS_24const_host_device_scalarIT1_EEPKS5_PS5_b.has_dyn_sized_stack, 0
	.set _ZN9rocsparseL18csrgemm_copy_scaleILj1024Ei21rocsparse_complex_numIdEEEvT0_NS_24const_host_device_scalarIT1_EEPKS5_PS5_b.has_recursion, 0
	.set _ZN9rocsparseL18csrgemm_copy_scaleILj1024Ei21rocsparse_complex_numIdEEEvT0_NS_24const_host_device_scalarIT1_EEPKS5_PS5_b.has_indirect_call, 0
	.section	.AMDGPU.csdata,"",@progbits
; Kernel info:
; codeLenInByte = 264
; TotalNumSgprs: 22
; NumVgprs: 13
; ScratchSize: 16
; MemoryBound: 0
; FloatMode: 240
; IeeeMode: 1
; LDSByteSize: 0 bytes/workgroup (compile time only)
; SGPRBlocks: 2
; VGPRBlocks: 3
; NumSGPRsForWavesPerEU: 22
; NumVGPRsForWavesPerEU: 13
; Occupancy: 10
; WaveLimiterHint : 0
; COMPUTE_PGM_RSRC2:SCRATCH_EN: 1
; COMPUTE_PGM_RSRC2:USER_SGPR: 8
; COMPUTE_PGM_RSRC2:TRAP_HANDLER: 0
; COMPUTE_PGM_RSRC2:TGID_X_EN: 1
; COMPUTE_PGM_RSRC2:TGID_Y_EN: 0
; COMPUTE_PGM_RSRC2:TGID_Z_EN: 0
; COMPUTE_PGM_RSRC2:TIDIG_COMP_CNT: 0
	.section	.text._ZN9rocsparseL12csrgemm_copyILj1024EliEEvT0_PKT1_PS2_21rocsparse_index_base_S6_,"axG",@progbits,_ZN9rocsparseL12csrgemm_copyILj1024EliEEvT0_PKT1_PS2_21rocsparse_index_base_S6_,comdat
	.globl	_ZN9rocsparseL12csrgemm_copyILj1024EliEEvT0_PKT1_PS2_21rocsparse_index_base_S6_ ; -- Begin function _ZN9rocsparseL12csrgemm_copyILj1024EliEEvT0_PKT1_PS2_21rocsparse_index_base_S6_
	.p2align	8
	.type	_ZN9rocsparseL12csrgemm_copyILj1024EliEEvT0_PKT1_PS2_21rocsparse_index_base_S6_,@function
_ZN9rocsparseL12csrgemm_copyILj1024EliEEvT0_PKT1_PS2_21rocsparse_index_base_S6_: ; @_ZN9rocsparseL12csrgemm_copyILj1024EliEEvT0_PKT1_PS2_21rocsparse_index_base_S6_
; %bb.0:
	s_load_dwordx2 s[0:1], s[4:5], 0x0
	v_lshl_or_b32 v0, s6, 10, v0
	v_mov_b32_e32 v1, 0
	s_waitcnt lgkmcnt(0)
	v_cmp_gt_i64_e32 vcc, s[0:1], v[0:1]
	s_and_saveexec_b64 s[0:1], vcc
	s_cbranch_execz .LBB5_2
; %bb.1:
	s_load_dwordx4 s[0:3], s[4:5], 0x8
	s_load_dwordx2 s[6:7], s[4:5], 0x18
	v_lshlrev_b64 v[0:1], 2, v[0:1]
	s_waitcnt lgkmcnt(0)
	v_mov_b32_e32 v3, s1
	v_add_co_u32_e32 v2, vcc, s0, v0
	v_addc_co_u32_e32 v3, vcc, v3, v1, vcc
	global_load_dword v2, v[2:3], off
	v_mov_b32_e32 v3, s3
	v_add_co_u32_e32 v0, vcc, s2, v0
	s_sub_i32 s0, s7, s6
	v_addc_co_u32_e32 v1, vcc, v3, v1, vcc
	s_waitcnt vmcnt(0)
	v_add_u32_e32 v2, s0, v2
	global_store_dword v[0:1], v2, off
.LBB5_2:
	s_endpgm
	.section	.rodata,"a",@progbits
	.p2align	6, 0x0
	.amdhsa_kernel _ZN9rocsparseL12csrgemm_copyILj1024EliEEvT0_PKT1_PS2_21rocsparse_index_base_S6_
		.amdhsa_group_segment_fixed_size 0
		.amdhsa_private_segment_fixed_size 0
		.amdhsa_kernarg_size 32
		.amdhsa_user_sgpr_count 6
		.amdhsa_user_sgpr_private_segment_buffer 1
		.amdhsa_user_sgpr_dispatch_ptr 0
		.amdhsa_user_sgpr_queue_ptr 0
		.amdhsa_user_sgpr_kernarg_segment_ptr 1
		.amdhsa_user_sgpr_dispatch_id 0
		.amdhsa_user_sgpr_flat_scratch_init 0
		.amdhsa_user_sgpr_private_segment_size 0
		.amdhsa_uses_dynamic_stack 0
		.amdhsa_system_sgpr_private_segment_wavefront_offset 0
		.amdhsa_system_sgpr_workgroup_id_x 1
		.amdhsa_system_sgpr_workgroup_id_y 0
		.amdhsa_system_sgpr_workgroup_id_z 0
		.amdhsa_system_sgpr_workgroup_info 0
		.amdhsa_system_vgpr_workitem_id 0
		.amdhsa_next_free_vgpr 4
		.amdhsa_next_free_sgpr 8
		.amdhsa_reserve_vcc 1
		.amdhsa_reserve_flat_scratch 0
		.amdhsa_float_round_mode_32 0
		.amdhsa_float_round_mode_16_64 0
		.amdhsa_float_denorm_mode_32 3
		.amdhsa_float_denorm_mode_16_64 3
		.amdhsa_dx10_clamp 1
		.amdhsa_ieee_mode 1
		.amdhsa_fp16_overflow 0
		.amdhsa_exception_fp_ieee_invalid_op 0
		.amdhsa_exception_fp_denorm_src 0
		.amdhsa_exception_fp_ieee_div_zero 0
		.amdhsa_exception_fp_ieee_overflow 0
		.amdhsa_exception_fp_ieee_underflow 0
		.amdhsa_exception_fp_ieee_inexact 0
		.amdhsa_exception_int_div_zero 0
	.end_amdhsa_kernel
	.section	.text._ZN9rocsparseL12csrgemm_copyILj1024EliEEvT0_PKT1_PS2_21rocsparse_index_base_S6_,"axG",@progbits,_ZN9rocsparseL12csrgemm_copyILj1024EliEEvT0_PKT1_PS2_21rocsparse_index_base_S6_,comdat
.Lfunc_end5:
	.size	_ZN9rocsparseL12csrgemm_copyILj1024EliEEvT0_PKT1_PS2_21rocsparse_index_base_S6_, .Lfunc_end5-_ZN9rocsparseL12csrgemm_copyILj1024EliEEvT0_PKT1_PS2_21rocsparse_index_base_S6_
                                        ; -- End function
	.set _ZN9rocsparseL12csrgemm_copyILj1024EliEEvT0_PKT1_PS2_21rocsparse_index_base_S6_.num_vgpr, 4
	.set _ZN9rocsparseL12csrgemm_copyILj1024EliEEvT0_PKT1_PS2_21rocsparse_index_base_S6_.num_agpr, 0
	.set _ZN9rocsparseL12csrgemm_copyILj1024EliEEvT0_PKT1_PS2_21rocsparse_index_base_S6_.numbered_sgpr, 8
	.set _ZN9rocsparseL12csrgemm_copyILj1024EliEEvT0_PKT1_PS2_21rocsparse_index_base_S6_.num_named_barrier, 0
	.set _ZN9rocsparseL12csrgemm_copyILj1024EliEEvT0_PKT1_PS2_21rocsparse_index_base_S6_.private_seg_size, 0
	.set _ZN9rocsparseL12csrgemm_copyILj1024EliEEvT0_PKT1_PS2_21rocsparse_index_base_S6_.uses_vcc, 1
	.set _ZN9rocsparseL12csrgemm_copyILj1024EliEEvT0_PKT1_PS2_21rocsparse_index_base_S6_.uses_flat_scratch, 0
	.set _ZN9rocsparseL12csrgemm_copyILj1024EliEEvT0_PKT1_PS2_21rocsparse_index_base_S6_.has_dyn_sized_stack, 0
	.set _ZN9rocsparseL12csrgemm_copyILj1024EliEEvT0_PKT1_PS2_21rocsparse_index_base_S6_.has_recursion, 0
	.set _ZN9rocsparseL12csrgemm_copyILj1024EliEEvT0_PKT1_PS2_21rocsparse_index_base_S6_.has_indirect_call, 0
	.section	.AMDGPU.csdata,"",@progbits
; Kernel info:
; codeLenInByte = 120
; TotalNumSgprs: 12
; NumVgprs: 4
; ScratchSize: 0
; MemoryBound: 0
; FloatMode: 240
; IeeeMode: 1
; LDSByteSize: 0 bytes/workgroup (compile time only)
; SGPRBlocks: 1
; VGPRBlocks: 0
; NumSGPRsForWavesPerEU: 12
; NumVGPRsForWavesPerEU: 4
; Occupancy: 10
; WaveLimiterHint : 0
; COMPUTE_PGM_RSRC2:SCRATCH_EN: 0
; COMPUTE_PGM_RSRC2:USER_SGPR: 6
; COMPUTE_PGM_RSRC2:TRAP_HANDLER: 0
; COMPUTE_PGM_RSRC2:TGID_X_EN: 1
; COMPUTE_PGM_RSRC2:TGID_Y_EN: 0
; COMPUTE_PGM_RSRC2:TGID_Z_EN: 0
; COMPUTE_PGM_RSRC2:TIDIG_COMP_CNT: 0
	.section	.text._ZN9rocsparseL18csrgemm_copy_scaleILj1024ElfEEvT0_NS_24const_host_device_scalarIT1_EEPKS3_PS3_b,"axG",@progbits,_ZN9rocsparseL18csrgemm_copy_scaleILj1024ElfEEvT0_NS_24const_host_device_scalarIT1_EEPKS3_PS3_b,comdat
	.globl	_ZN9rocsparseL18csrgemm_copy_scaleILj1024ElfEEvT0_NS_24const_host_device_scalarIT1_EEPKS3_PS3_b ; -- Begin function _ZN9rocsparseL18csrgemm_copy_scaleILj1024ElfEEvT0_NS_24const_host_device_scalarIT1_EEPKS3_PS3_b
	.p2align	8
	.type	_ZN9rocsparseL18csrgemm_copy_scaleILj1024ElfEEvT0_NS_24const_host_device_scalarIT1_EEPKS3_PS3_b,@function
_ZN9rocsparseL18csrgemm_copy_scaleILj1024ElfEEvT0_NS_24const_host_device_scalarIT1_EEPKS3_PS3_b: ; @_ZN9rocsparseL18csrgemm_copy_scaleILj1024ElfEEvT0_NS_24const_host_device_scalarIT1_EEPKS3_PS3_b
; %bb.0:
	s_load_dwordx4 s[0:3], s[4:5], 0x0
	v_lshl_or_b32 v0, s6, 10, v0
	v_mov_b32_e32 v1, 0
	s_waitcnt lgkmcnt(0)
	v_cmp_gt_i64_e32 vcc, s[0:1], v[0:1]
	s_and_saveexec_b64 s[0:1], vcc
	s_cbranch_execz .LBB6_4
; %bb.1:
	s_load_dword s0, s[4:5], 0x20
	s_load_dwordx4 s[8:11], s[4:5], 0x10
	s_waitcnt lgkmcnt(0)
	s_bitcmp1_b32 s0, 0
	s_cselect_b64 s[0:1], -1, 0
	s_and_b64 vcc, exec, s[0:1]
	s_cbranch_vccnz .LBB6_3
; %bb.2:
	s_load_dword s2, s[2:3], 0x0
.LBB6_3:
	v_lshlrev_b64 v[0:1], 2, v[0:1]
	v_mov_b32_e32 v3, s9
	v_add_co_u32_e32 v2, vcc, s8, v0
	v_addc_co_u32_e32 v3, vcc, v3, v1, vcc
	global_load_dword v2, v[2:3], off
	v_mov_b32_e32 v3, s11
	v_add_co_u32_e32 v0, vcc, s10, v0
	v_addc_co_u32_e32 v1, vcc, v3, v1, vcc
	s_waitcnt vmcnt(0) lgkmcnt(0)
	v_mul_f32_e32 v2, s2, v2
	global_store_dword v[0:1], v2, off
.LBB6_4:
	s_endpgm
	.section	.rodata,"a",@progbits
	.p2align	6, 0x0
	.amdhsa_kernel _ZN9rocsparseL18csrgemm_copy_scaleILj1024ElfEEvT0_NS_24const_host_device_scalarIT1_EEPKS3_PS3_b
		.amdhsa_group_segment_fixed_size 0
		.amdhsa_private_segment_fixed_size 0
		.amdhsa_kernarg_size 36
		.amdhsa_user_sgpr_count 6
		.amdhsa_user_sgpr_private_segment_buffer 1
		.amdhsa_user_sgpr_dispatch_ptr 0
		.amdhsa_user_sgpr_queue_ptr 0
		.amdhsa_user_sgpr_kernarg_segment_ptr 1
		.amdhsa_user_sgpr_dispatch_id 0
		.amdhsa_user_sgpr_flat_scratch_init 0
		.amdhsa_user_sgpr_private_segment_size 0
		.amdhsa_uses_dynamic_stack 0
		.amdhsa_system_sgpr_private_segment_wavefront_offset 0
		.amdhsa_system_sgpr_workgroup_id_x 1
		.amdhsa_system_sgpr_workgroup_id_y 0
		.amdhsa_system_sgpr_workgroup_id_z 0
		.amdhsa_system_sgpr_workgroup_info 0
		.amdhsa_system_vgpr_workitem_id 0
		.amdhsa_next_free_vgpr 4
		.amdhsa_next_free_sgpr 12
		.amdhsa_reserve_vcc 1
		.amdhsa_reserve_flat_scratch 0
		.amdhsa_float_round_mode_32 0
		.amdhsa_float_round_mode_16_64 0
		.amdhsa_float_denorm_mode_32 3
		.amdhsa_float_denorm_mode_16_64 3
		.amdhsa_dx10_clamp 1
		.amdhsa_ieee_mode 1
		.amdhsa_fp16_overflow 0
		.amdhsa_exception_fp_ieee_invalid_op 0
		.amdhsa_exception_fp_denorm_src 0
		.amdhsa_exception_fp_ieee_div_zero 0
		.amdhsa_exception_fp_ieee_overflow 0
		.amdhsa_exception_fp_ieee_underflow 0
		.amdhsa_exception_fp_ieee_inexact 0
		.amdhsa_exception_int_div_zero 0
	.end_amdhsa_kernel
	.section	.text._ZN9rocsparseL18csrgemm_copy_scaleILj1024ElfEEvT0_NS_24const_host_device_scalarIT1_EEPKS3_PS3_b,"axG",@progbits,_ZN9rocsparseL18csrgemm_copy_scaleILj1024ElfEEvT0_NS_24const_host_device_scalarIT1_EEPKS3_PS3_b,comdat
.Lfunc_end6:
	.size	_ZN9rocsparseL18csrgemm_copy_scaleILj1024ElfEEvT0_NS_24const_host_device_scalarIT1_EEPKS3_PS3_b, .Lfunc_end6-_ZN9rocsparseL18csrgemm_copy_scaleILj1024ElfEEvT0_NS_24const_host_device_scalarIT1_EEPKS3_PS3_b
                                        ; -- End function
	.set _ZN9rocsparseL18csrgemm_copy_scaleILj1024ElfEEvT0_NS_24const_host_device_scalarIT1_EEPKS3_PS3_b.num_vgpr, 4
	.set _ZN9rocsparseL18csrgemm_copy_scaleILj1024ElfEEvT0_NS_24const_host_device_scalarIT1_EEPKS3_PS3_b.num_agpr, 0
	.set _ZN9rocsparseL18csrgemm_copy_scaleILj1024ElfEEvT0_NS_24const_host_device_scalarIT1_EEPKS3_PS3_b.numbered_sgpr, 12
	.set _ZN9rocsparseL18csrgemm_copy_scaleILj1024ElfEEvT0_NS_24const_host_device_scalarIT1_EEPKS3_PS3_b.num_named_barrier, 0
	.set _ZN9rocsparseL18csrgemm_copy_scaleILj1024ElfEEvT0_NS_24const_host_device_scalarIT1_EEPKS3_PS3_b.private_seg_size, 0
	.set _ZN9rocsparseL18csrgemm_copy_scaleILj1024ElfEEvT0_NS_24const_host_device_scalarIT1_EEPKS3_PS3_b.uses_vcc, 1
	.set _ZN9rocsparseL18csrgemm_copy_scaleILj1024ElfEEvT0_NS_24const_host_device_scalarIT1_EEPKS3_PS3_b.uses_flat_scratch, 0
	.set _ZN9rocsparseL18csrgemm_copy_scaleILj1024ElfEEvT0_NS_24const_host_device_scalarIT1_EEPKS3_PS3_b.has_dyn_sized_stack, 0
	.set _ZN9rocsparseL18csrgemm_copy_scaleILj1024ElfEEvT0_NS_24const_host_device_scalarIT1_EEPKS3_PS3_b.has_recursion, 0
	.set _ZN9rocsparseL18csrgemm_copy_scaleILj1024ElfEEvT0_NS_24const_host_device_scalarIT1_EEPKS3_PS3_b.has_indirect_call, 0
	.section	.AMDGPU.csdata,"",@progbits
; Kernel info:
; codeLenInByte = 140
; TotalNumSgprs: 16
; NumVgprs: 4
; ScratchSize: 0
; MemoryBound: 0
; FloatMode: 240
; IeeeMode: 1
; LDSByteSize: 0 bytes/workgroup (compile time only)
; SGPRBlocks: 1
; VGPRBlocks: 0
; NumSGPRsForWavesPerEU: 16
; NumVGPRsForWavesPerEU: 4
; Occupancy: 10
; WaveLimiterHint : 0
; COMPUTE_PGM_RSRC2:SCRATCH_EN: 0
; COMPUTE_PGM_RSRC2:USER_SGPR: 6
; COMPUTE_PGM_RSRC2:TRAP_HANDLER: 0
; COMPUTE_PGM_RSRC2:TGID_X_EN: 1
; COMPUTE_PGM_RSRC2:TGID_Y_EN: 0
; COMPUTE_PGM_RSRC2:TGID_Z_EN: 0
; COMPUTE_PGM_RSRC2:TIDIG_COMP_CNT: 0
	.section	.text._ZN9rocsparseL18csrgemm_copy_scaleILj1024EldEEvT0_NS_24const_host_device_scalarIT1_EEPKS3_PS3_b,"axG",@progbits,_ZN9rocsparseL18csrgemm_copy_scaleILj1024EldEEvT0_NS_24const_host_device_scalarIT1_EEPKS3_PS3_b,comdat
	.globl	_ZN9rocsparseL18csrgemm_copy_scaleILj1024EldEEvT0_NS_24const_host_device_scalarIT1_EEPKS3_PS3_b ; -- Begin function _ZN9rocsparseL18csrgemm_copy_scaleILj1024EldEEvT0_NS_24const_host_device_scalarIT1_EEPKS3_PS3_b
	.p2align	8
	.type	_ZN9rocsparseL18csrgemm_copy_scaleILj1024EldEEvT0_NS_24const_host_device_scalarIT1_EEPKS3_PS3_b,@function
_ZN9rocsparseL18csrgemm_copy_scaleILj1024EldEEvT0_NS_24const_host_device_scalarIT1_EEPKS3_PS3_b: ; @_ZN9rocsparseL18csrgemm_copy_scaleILj1024EldEEvT0_NS_24const_host_device_scalarIT1_EEPKS3_PS3_b
; %bb.0:
	s_load_dword s7, s[4:5], 0x20
	s_load_dwordx4 s[0:3], s[4:5], 0x0
	s_waitcnt lgkmcnt(0)
	s_bitcmp1_b32 s7, 0
	s_cselect_b64 s[8:9], -1, 0
	v_mov_b32_e32 v1, s2
	s_and_b64 vcc, exec, s[8:9]
	v_mov_b32_e32 v2, s3
	s_cbranch_vccnz .LBB7_2
; %bb.1:
	v_mov_b32_e32 v1, s2
	v_mov_b32_e32 v2, s3
	flat_load_dwordx2 v[1:2], v[1:2]
.LBB7_2:
	v_lshl_or_b32 v3, s6, 10, v0
	v_mov_b32_e32 v4, 0
	v_cmp_gt_i64_e32 vcc, s[0:1], v[3:4]
	s_and_saveexec_b64 s[0:1], vcc
	s_cbranch_execz .LBB7_4
; %bb.3:
	s_load_dwordx4 s[0:3], s[4:5], 0x10
	v_lshlrev_b64 v[3:4], 3, v[3:4]
	s_waitcnt lgkmcnt(0)
	v_mov_b32_e32 v0, s1
	v_add_co_u32_e32 v5, vcc, s0, v3
	v_addc_co_u32_e32 v6, vcc, v0, v4, vcc
	global_load_dwordx2 v[5:6], v[5:6], off
	s_waitcnt vmcnt(0)
	v_mul_f64 v[0:1], v[1:2], v[5:6]
	v_mov_b32_e32 v5, s3
	v_add_co_u32_e32 v2, vcc, s2, v3
	v_addc_co_u32_e32 v3, vcc, v5, v4, vcc
	global_store_dwordx2 v[2:3], v[0:1], off
.LBB7_4:
	s_endpgm
	.section	.rodata,"a",@progbits
	.p2align	6, 0x0
	.amdhsa_kernel _ZN9rocsparseL18csrgemm_copy_scaleILj1024EldEEvT0_NS_24const_host_device_scalarIT1_EEPKS3_PS3_b
		.amdhsa_group_segment_fixed_size 0
		.amdhsa_private_segment_fixed_size 0
		.amdhsa_kernarg_size 36
		.amdhsa_user_sgpr_count 6
		.amdhsa_user_sgpr_private_segment_buffer 1
		.amdhsa_user_sgpr_dispatch_ptr 0
		.amdhsa_user_sgpr_queue_ptr 0
		.amdhsa_user_sgpr_kernarg_segment_ptr 1
		.amdhsa_user_sgpr_dispatch_id 0
		.amdhsa_user_sgpr_flat_scratch_init 0
		.amdhsa_user_sgpr_private_segment_size 0
		.amdhsa_uses_dynamic_stack 0
		.amdhsa_system_sgpr_private_segment_wavefront_offset 0
		.amdhsa_system_sgpr_workgroup_id_x 1
		.amdhsa_system_sgpr_workgroup_id_y 0
		.amdhsa_system_sgpr_workgroup_id_z 0
		.amdhsa_system_sgpr_workgroup_info 0
		.amdhsa_system_vgpr_workitem_id 0
		.amdhsa_next_free_vgpr 7
		.amdhsa_next_free_sgpr 10
		.amdhsa_reserve_vcc 1
		.amdhsa_reserve_flat_scratch 0
		.amdhsa_float_round_mode_32 0
		.amdhsa_float_round_mode_16_64 0
		.amdhsa_float_denorm_mode_32 3
		.amdhsa_float_denorm_mode_16_64 3
		.amdhsa_dx10_clamp 1
		.amdhsa_ieee_mode 1
		.amdhsa_fp16_overflow 0
		.amdhsa_exception_fp_ieee_invalid_op 0
		.amdhsa_exception_fp_denorm_src 0
		.amdhsa_exception_fp_ieee_div_zero 0
		.amdhsa_exception_fp_ieee_overflow 0
		.amdhsa_exception_fp_ieee_underflow 0
		.amdhsa_exception_fp_ieee_inexact 0
		.amdhsa_exception_int_div_zero 0
	.end_amdhsa_kernel
	.section	.text._ZN9rocsparseL18csrgemm_copy_scaleILj1024EldEEvT0_NS_24const_host_device_scalarIT1_EEPKS3_PS3_b,"axG",@progbits,_ZN9rocsparseL18csrgemm_copy_scaleILj1024EldEEvT0_NS_24const_host_device_scalarIT1_EEPKS3_PS3_b,comdat
.Lfunc_end7:
	.size	_ZN9rocsparseL18csrgemm_copy_scaleILj1024EldEEvT0_NS_24const_host_device_scalarIT1_EEPKS3_PS3_b, .Lfunc_end7-_ZN9rocsparseL18csrgemm_copy_scaleILj1024EldEEvT0_NS_24const_host_device_scalarIT1_EEPKS3_PS3_b
                                        ; -- End function
	.set _ZN9rocsparseL18csrgemm_copy_scaleILj1024EldEEvT0_NS_24const_host_device_scalarIT1_EEPKS3_PS3_b.num_vgpr, 7
	.set _ZN9rocsparseL18csrgemm_copy_scaleILj1024EldEEvT0_NS_24const_host_device_scalarIT1_EEPKS3_PS3_b.num_agpr, 0
	.set _ZN9rocsparseL18csrgemm_copy_scaleILj1024EldEEvT0_NS_24const_host_device_scalarIT1_EEPKS3_PS3_b.numbered_sgpr, 10
	.set _ZN9rocsparseL18csrgemm_copy_scaleILj1024EldEEvT0_NS_24const_host_device_scalarIT1_EEPKS3_PS3_b.num_named_barrier, 0
	.set _ZN9rocsparseL18csrgemm_copy_scaleILj1024EldEEvT0_NS_24const_host_device_scalarIT1_EEPKS3_PS3_b.private_seg_size, 0
	.set _ZN9rocsparseL18csrgemm_copy_scaleILj1024EldEEvT0_NS_24const_host_device_scalarIT1_EEPKS3_PS3_b.uses_vcc, 1
	.set _ZN9rocsparseL18csrgemm_copy_scaleILj1024EldEEvT0_NS_24const_host_device_scalarIT1_EEPKS3_PS3_b.uses_flat_scratch, 0
	.set _ZN9rocsparseL18csrgemm_copy_scaleILj1024EldEEvT0_NS_24const_host_device_scalarIT1_EEPKS3_PS3_b.has_dyn_sized_stack, 0
	.set _ZN9rocsparseL18csrgemm_copy_scaleILj1024EldEEvT0_NS_24const_host_device_scalarIT1_EEPKS3_PS3_b.has_recursion, 0
	.set _ZN9rocsparseL18csrgemm_copy_scaleILj1024EldEEvT0_NS_24const_host_device_scalarIT1_EEPKS3_PS3_b.has_indirect_call, 0
	.section	.AMDGPU.csdata,"",@progbits
; Kernel info:
; codeLenInByte = 160
; TotalNumSgprs: 14
; NumVgprs: 7
; ScratchSize: 0
; MemoryBound: 0
; FloatMode: 240
; IeeeMode: 1
; LDSByteSize: 0 bytes/workgroup (compile time only)
; SGPRBlocks: 1
; VGPRBlocks: 1
; NumSGPRsForWavesPerEU: 14
; NumVGPRsForWavesPerEU: 7
; Occupancy: 10
; WaveLimiterHint : 0
; COMPUTE_PGM_RSRC2:SCRATCH_EN: 0
; COMPUTE_PGM_RSRC2:USER_SGPR: 6
; COMPUTE_PGM_RSRC2:TRAP_HANDLER: 0
; COMPUTE_PGM_RSRC2:TGID_X_EN: 1
; COMPUTE_PGM_RSRC2:TGID_Y_EN: 0
; COMPUTE_PGM_RSRC2:TGID_Z_EN: 0
; COMPUTE_PGM_RSRC2:TIDIG_COMP_CNT: 0
	.section	.text._ZN9rocsparseL18csrgemm_copy_scaleILj1024El21rocsparse_complex_numIfEEEvT0_NS_24const_host_device_scalarIT1_EEPKS5_PS5_b,"axG",@progbits,_ZN9rocsparseL18csrgemm_copy_scaleILj1024El21rocsparse_complex_numIfEEEvT0_NS_24const_host_device_scalarIT1_EEPKS5_PS5_b,comdat
	.globl	_ZN9rocsparseL18csrgemm_copy_scaleILj1024El21rocsparse_complex_numIfEEEvT0_NS_24const_host_device_scalarIT1_EEPKS5_PS5_b ; -- Begin function _ZN9rocsparseL18csrgemm_copy_scaleILj1024El21rocsparse_complex_numIfEEEvT0_NS_24const_host_device_scalarIT1_EEPKS5_PS5_b
	.p2align	8
	.type	_ZN9rocsparseL18csrgemm_copy_scaleILj1024El21rocsparse_complex_numIfEEEvT0_NS_24const_host_device_scalarIT1_EEPKS5_PS5_b,@function
_ZN9rocsparseL18csrgemm_copy_scaleILj1024El21rocsparse_complex_numIfEEEvT0_NS_24const_host_device_scalarIT1_EEPKS5_PS5_b: ; @_ZN9rocsparseL18csrgemm_copy_scaleILj1024El21rocsparse_complex_numIfEEEvT0_NS_24const_host_device_scalarIT1_EEPKS5_PS5_b
; %bb.0:
	s_load_dword s7, s[4:5], 0x20
	s_load_dwordx4 s[0:3], s[4:5], 0x0
	s_waitcnt lgkmcnt(0)
	s_bitcmp1_b32 s7, 0
	s_cselect_b64 s[10:11], -1, 0
	s_xor_b64 s[8:9], s[10:11], -1
	s_and_b64 vcc, exec, s[10:11]
	s_mov_b32 s7, s2
	s_cbranch_vccnz .LBB8_2
; %bb.1:
	s_load_dword s7, s[2:3], 0x0
.LBB8_2:
	s_andn2_b64 vcc, exec, s[8:9]
	s_cbranch_vccnz .LBB8_4
; %bb.3:
	s_load_dword s3, s[2:3], 0x4
.LBB8_4:
	v_lshl_or_b32 v0, s6, 10, v0
	v_mov_b32_e32 v1, 0
	v_cmp_gt_i64_e32 vcc, s[0:1], v[0:1]
	s_and_saveexec_b64 s[0:1], vcc
	s_cbranch_execz .LBB8_6
; %bb.5:
	s_load_dwordx4 s[8:11], s[4:5], 0x10
	v_lshlrev_b64 v[0:1], 3, v[0:1]
	s_waitcnt lgkmcnt(0)
	v_mov_b32_e32 v3, s9
	v_add_co_u32_e32 v2, vcc, s8, v0
	v_addc_co_u32_e32 v3, vcc, v3, v1, vcc
	global_load_dwordx2 v[2:3], v[2:3], off
	v_mov_b32_e32 v6, s11
	v_add_co_u32_e32 v0, vcc, s10, v0
	v_addc_co_u32_e32 v1, vcc, v6, v1, vcc
	s_waitcnt vmcnt(0)
	v_mul_f32_e64 v4, v3, -s3
	v_mul_f32_e32 v5, s7, v3
	v_fmac_f32_e32 v4, s7, v2
	v_fmac_f32_e32 v5, s3, v2
	global_store_dwordx2 v[0:1], v[4:5], off
.LBB8_6:
	s_endpgm
	.section	.rodata,"a",@progbits
	.p2align	6, 0x0
	.amdhsa_kernel _ZN9rocsparseL18csrgemm_copy_scaleILj1024El21rocsparse_complex_numIfEEEvT0_NS_24const_host_device_scalarIT1_EEPKS5_PS5_b
		.amdhsa_group_segment_fixed_size 0
		.amdhsa_private_segment_fixed_size 0
		.amdhsa_kernarg_size 36
		.amdhsa_user_sgpr_count 6
		.amdhsa_user_sgpr_private_segment_buffer 1
		.amdhsa_user_sgpr_dispatch_ptr 0
		.amdhsa_user_sgpr_queue_ptr 0
		.amdhsa_user_sgpr_kernarg_segment_ptr 1
		.amdhsa_user_sgpr_dispatch_id 0
		.amdhsa_user_sgpr_flat_scratch_init 0
		.amdhsa_user_sgpr_private_segment_size 0
		.amdhsa_uses_dynamic_stack 0
		.amdhsa_system_sgpr_private_segment_wavefront_offset 0
		.amdhsa_system_sgpr_workgroup_id_x 1
		.amdhsa_system_sgpr_workgroup_id_y 0
		.amdhsa_system_sgpr_workgroup_id_z 0
		.amdhsa_system_sgpr_workgroup_info 0
		.amdhsa_system_vgpr_workitem_id 0
		.amdhsa_next_free_vgpr 7
		.amdhsa_next_free_sgpr 12
		.amdhsa_reserve_vcc 1
		.amdhsa_reserve_flat_scratch 0
		.amdhsa_float_round_mode_32 0
		.amdhsa_float_round_mode_16_64 0
		.amdhsa_float_denorm_mode_32 3
		.amdhsa_float_denorm_mode_16_64 3
		.amdhsa_dx10_clamp 1
		.amdhsa_ieee_mode 1
		.amdhsa_fp16_overflow 0
		.amdhsa_exception_fp_ieee_invalid_op 0
		.amdhsa_exception_fp_denorm_src 0
		.amdhsa_exception_fp_ieee_div_zero 0
		.amdhsa_exception_fp_ieee_overflow 0
		.amdhsa_exception_fp_ieee_underflow 0
		.amdhsa_exception_fp_ieee_inexact 0
		.amdhsa_exception_int_div_zero 0
	.end_amdhsa_kernel
	.section	.text._ZN9rocsparseL18csrgemm_copy_scaleILj1024El21rocsparse_complex_numIfEEEvT0_NS_24const_host_device_scalarIT1_EEPKS5_PS5_b,"axG",@progbits,_ZN9rocsparseL18csrgemm_copy_scaleILj1024El21rocsparse_complex_numIfEEEvT0_NS_24const_host_device_scalarIT1_EEPKS5_PS5_b,comdat
.Lfunc_end8:
	.size	_ZN9rocsparseL18csrgemm_copy_scaleILj1024El21rocsparse_complex_numIfEEEvT0_NS_24const_host_device_scalarIT1_EEPKS5_PS5_b, .Lfunc_end8-_ZN9rocsparseL18csrgemm_copy_scaleILj1024El21rocsparse_complex_numIfEEEvT0_NS_24const_host_device_scalarIT1_EEPKS5_PS5_b
                                        ; -- End function
	.set _ZN9rocsparseL18csrgemm_copy_scaleILj1024El21rocsparse_complex_numIfEEEvT0_NS_24const_host_device_scalarIT1_EEPKS5_PS5_b.num_vgpr, 7
	.set _ZN9rocsparseL18csrgemm_copy_scaleILj1024El21rocsparse_complex_numIfEEEvT0_NS_24const_host_device_scalarIT1_EEPKS5_PS5_b.num_agpr, 0
	.set _ZN9rocsparseL18csrgemm_copy_scaleILj1024El21rocsparse_complex_numIfEEEvT0_NS_24const_host_device_scalarIT1_EEPKS5_PS5_b.numbered_sgpr, 12
	.set _ZN9rocsparseL18csrgemm_copy_scaleILj1024El21rocsparse_complex_numIfEEEvT0_NS_24const_host_device_scalarIT1_EEPKS5_PS5_b.num_named_barrier, 0
	.set _ZN9rocsparseL18csrgemm_copy_scaleILj1024El21rocsparse_complex_numIfEEEvT0_NS_24const_host_device_scalarIT1_EEPKS5_PS5_b.private_seg_size, 0
	.set _ZN9rocsparseL18csrgemm_copy_scaleILj1024El21rocsparse_complex_numIfEEEvT0_NS_24const_host_device_scalarIT1_EEPKS5_PS5_b.uses_vcc, 1
	.set _ZN9rocsparseL18csrgemm_copy_scaleILj1024El21rocsparse_complex_numIfEEEvT0_NS_24const_host_device_scalarIT1_EEPKS5_PS5_b.uses_flat_scratch, 0
	.set _ZN9rocsparseL18csrgemm_copy_scaleILj1024El21rocsparse_complex_numIfEEEvT0_NS_24const_host_device_scalarIT1_EEPKS5_PS5_b.has_dyn_sized_stack, 0
	.set _ZN9rocsparseL18csrgemm_copy_scaleILj1024El21rocsparse_complex_numIfEEEvT0_NS_24const_host_device_scalarIT1_EEPKS5_PS5_b.has_recursion, 0
	.set _ZN9rocsparseL18csrgemm_copy_scaleILj1024El21rocsparse_complex_numIfEEEvT0_NS_24const_host_device_scalarIT1_EEPKS5_PS5_b.has_indirect_call, 0
	.section	.AMDGPU.csdata,"",@progbits
; Kernel info:
; codeLenInByte = 180
; TotalNumSgprs: 16
; NumVgprs: 7
; ScratchSize: 0
; MemoryBound: 0
; FloatMode: 240
; IeeeMode: 1
; LDSByteSize: 0 bytes/workgroup (compile time only)
; SGPRBlocks: 1
; VGPRBlocks: 1
; NumSGPRsForWavesPerEU: 16
; NumVGPRsForWavesPerEU: 7
; Occupancy: 10
; WaveLimiterHint : 0
; COMPUTE_PGM_RSRC2:SCRATCH_EN: 0
; COMPUTE_PGM_RSRC2:USER_SGPR: 6
; COMPUTE_PGM_RSRC2:TRAP_HANDLER: 0
; COMPUTE_PGM_RSRC2:TGID_X_EN: 1
; COMPUTE_PGM_RSRC2:TGID_Y_EN: 0
; COMPUTE_PGM_RSRC2:TGID_Z_EN: 0
; COMPUTE_PGM_RSRC2:TIDIG_COMP_CNT: 0
	.section	.text._ZN9rocsparseL18csrgemm_copy_scaleILj1024El21rocsparse_complex_numIdEEEvT0_NS_24const_host_device_scalarIT1_EEPKS5_PS5_b,"axG",@progbits,_ZN9rocsparseL18csrgemm_copy_scaleILj1024El21rocsparse_complex_numIdEEEvT0_NS_24const_host_device_scalarIT1_EEPKS5_PS5_b,comdat
	.globl	_ZN9rocsparseL18csrgemm_copy_scaleILj1024El21rocsparse_complex_numIdEEEvT0_NS_24const_host_device_scalarIT1_EEPKS5_PS5_b ; -- Begin function _ZN9rocsparseL18csrgemm_copy_scaleILj1024El21rocsparse_complex_numIdEEEvT0_NS_24const_host_device_scalarIT1_EEPKS5_PS5_b
	.p2align	8
	.type	_ZN9rocsparseL18csrgemm_copy_scaleILj1024El21rocsparse_complex_numIdEEEvT0_NS_24const_host_device_scalarIT1_EEPKS5_PS5_b,@function
_ZN9rocsparseL18csrgemm_copy_scaleILj1024El21rocsparse_complex_numIdEEEvT0_NS_24const_host_device_scalarIT1_EEPKS5_PS5_b: ; @_ZN9rocsparseL18csrgemm_copy_scaleILj1024El21rocsparse_complex_numIdEEEvT0_NS_24const_host_device_scalarIT1_EEPKS5_PS5_b
; %bb.0:
	s_add_u32 flat_scratch_lo, s6, s9
	s_addc_u32 flat_scratch_hi, s7, 0
	s_mov_b64 s[6:7], src_private_base
	s_load_dword s6, s[4:5], 0x28
	s_load_dwordx4 s[12:15], s[4:5], 0x0
	s_load_dwordx2 s[10:11], s[4:5], 0x10
	s_add_u32 s0, s0, s9
	s_addc_u32 s1, s1, 0
	s_waitcnt lgkmcnt(0)
	s_bitcmp1_b32 s6, 0
	s_cselect_b64 s[16:17], -1, 0
	v_mov_b32_e32 v1, s15
	s_and_b64 vcc, s[16:17], exec
	buffer_store_dword v1, off, s[0:3], 0 offset:4
	v_mov_b32_e32 v1, s14
	s_cselect_b32 s6, s7, s15
	s_cselect_b32 s7, 0, s14
	buffer_store_dword v1, off, s[0:3], 0
	v_mov_b32_e32 v1, s7
	v_mov_b32_e32 v2, s6
	flat_load_dwordx2 v[1:2], v[1:2]
	v_mov_b32_e32 v3, s10
	v_mov_b32_e32 v4, s11
	s_cbranch_vccnz .LBB9_2
; %bb.1:
	v_mov_b32_e32 v3, s14
	v_mov_b32_e32 v4, s15
	flat_load_dwordx2 v[3:4], v[3:4] offset:8
.LBB9_2:
	v_lshl_or_b32 v5, s8, 10, v0
	v_mov_b32_e32 v6, 0
	v_cmp_gt_i64_e32 vcc, s[12:13], v[5:6]
	s_and_saveexec_b64 s[6:7], vcc
	s_cbranch_execz .LBB9_4
; %bb.3:
	s_load_dwordx4 s[8:11], s[4:5], 0x18
	v_lshlrev_b64 v[9:10], 4, v[5:6]
	s_waitcnt lgkmcnt(0)
	v_mov_b32_e32 v0, s9
	v_add_co_u32_e32 v5, vcc, s8, v9
	v_addc_co_u32_e32 v6, vcc, v0, v10, vcc
	global_load_dwordx4 v[5:8], v[5:6], off
	s_waitcnt vmcnt(0)
	v_mul_f64 v[11:12], v[7:8], -v[3:4]
	v_mul_f64 v[7:8], v[1:2], v[7:8]
	v_fma_f64 v[0:1], v[1:2], v[5:6], v[11:12]
	v_fma_f64 v[2:3], v[3:4], v[5:6], v[7:8]
	v_mov_b32_e32 v5, s11
	v_add_co_u32_e32 v4, vcc, s10, v9
	v_addc_co_u32_e32 v5, vcc, v5, v10, vcc
	global_store_dwordx4 v[4:5], v[0:3], off
.LBB9_4:
	s_endpgm
	.section	.rodata,"a",@progbits
	.p2align	6, 0x0
	.amdhsa_kernel _ZN9rocsparseL18csrgemm_copy_scaleILj1024El21rocsparse_complex_numIdEEEvT0_NS_24const_host_device_scalarIT1_EEPKS5_PS5_b
		.amdhsa_group_segment_fixed_size 0
		.amdhsa_private_segment_fixed_size 16
		.amdhsa_kernarg_size 44
		.amdhsa_user_sgpr_count 8
		.amdhsa_user_sgpr_private_segment_buffer 1
		.amdhsa_user_sgpr_dispatch_ptr 0
		.amdhsa_user_sgpr_queue_ptr 0
		.amdhsa_user_sgpr_kernarg_segment_ptr 1
		.amdhsa_user_sgpr_dispatch_id 0
		.amdhsa_user_sgpr_flat_scratch_init 1
		.amdhsa_user_sgpr_private_segment_size 0
		.amdhsa_uses_dynamic_stack 0
		.amdhsa_system_sgpr_private_segment_wavefront_offset 1
		.amdhsa_system_sgpr_workgroup_id_x 1
		.amdhsa_system_sgpr_workgroup_id_y 0
		.amdhsa_system_sgpr_workgroup_id_z 0
		.amdhsa_system_sgpr_workgroup_info 0
		.amdhsa_system_vgpr_workitem_id 0
		.amdhsa_next_free_vgpr 13
		.amdhsa_next_free_sgpr 18
		.amdhsa_reserve_vcc 1
		.amdhsa_reserve_flat_scratch 1
		.amdhsa_float_round_mode_32 0
		.amdhsa_float_round_mode_16_64 0
		.amdhsa_float_denorm_mode_32 3
		.amdhsa_float_denorm_mode_16_64 3
		.amdhsa_dx10_clamp 1
		.amdhsa_ieee_mode 1
		.amdhsa_fp16_overflow 0
		.amdhsa_exception_fp_ieee_invalid_op 0
		.amdhsa_exception_fp_denorm_src 0
		.amdhsa_exception_fp_ieee_div_zero 0
		.amdhsa_exception_fp_ieee_overflow 0
		.amdhsa_exception_fp_ieee_underflow 0
		.amdhsa_exception_fp_ieee_inexact 0
		.amdhsa_exception_int_div_zero 0
	.end_amdhsa_kernel
	.section	.text._ZN9rocsparseL18csrgemm_copy_scaleILj1024El21rocsparse_complex_numIdEEEvT0_NS_24const_host_device_scalarIT1_EEPKS5_PS5_b,"axG",@progbits,_ZN9rocsparseL18csrgemm_copy_scaleILj1024El21rocsparse_complex_numIdEEEvT0_NS_24const_host_device_scalarIT1_EEPKS5_PS5_b,comdat
.Lfunc_end9:
	.size	_ZN9rocsparseL18csrgemm_copy_scaleILj1024El21rocsparse_complex_numIdEEEvT0_NS_24const_host_device_scalarIT1_EEPKS5_PS5_b, .Lfunc_end9-_ZN9rocsparseL18csrgemm_copy_scaleILj1024El21rocsparse_complex_numIdEEEvT0_NS_24const_host_device_scalarIT1_EEPKS5_PS5_b
                                        ; -- End function
	.set _ZN9rocsparseL18csrgemm_copy_scaleILj1024El21rocsparse_complex_numIdEEEvT0_NS_24const_host_device_scalarIT1_EEPKS5_PS5_b.num_vgpr, 13
	.set _ZN9rocsparseL18csrgemm_copy_scaleILj1024El21rocsparse_complex_numIdEEEvT0_NS_24const_host_device_scalarIT1_EEPKS5_PS5_b.num_agpr, 0
	.set _ZN9rocsparseL18csrgemm_copy_scaleILj1024El21rocsparse_complex_numIdEEEvT0_NS_24const_host_device_scalarIT1_EEPKS5_PS5_b.numbered_sgpr, 18
	.set _ZN9rocsparseL18csrgemm_copy_scaleILj1024El21rocsparse_complex_numIdEEEvT0_NS_24const_host_device_scalarIT1_EEPKS5_PS5_b.num_named_barrier, 0
	.set _ZN9rocsparseL18csrgemm_copy_scaleILj1024El21rocsparse_complex_numIdEEEvT0_NS_24const_host_device_scalarIT1_EEPKS5_PS5_b.private_seg_size, 16
	.set _ZN9rocsparseL18csrgemm_copy_scaleILj1024El21rocsparse_complex_numIdEEEvT0_NS_24const_host_device_scalarIT1_EEPKS5_PS5_b.uses_vcc, 1
	.set _ZN9rocsparseL18csrgemm_copy_scaleILj1024El21rocsparse_complex_numIdEEEvT0_NS_24const_host_device_scalarIT1_EEPKS5_PS5_b.uses_flat_scratch, 1
	.set _ZN9rocsparseL18csrgemm_copy_scaleILj1024El21rocsparse_complex_numIdEEEvT0_NS_24const_host_device_scalarIT1_EEPKS5_PS5_b.has_dyn_sized_stack, 0
	.set _ZN9rocsparseL18csrgemm_copy_scaleILj1024El21rocsparse_complex_numIdEEEvT0_NS_24const_host_device_scalarIT1_EEPKS5_PS5_b.has_recursion, 0
	.set _ZN9rocsparseL18csrgemm_copy_scaleILj1024El21rocsparse_complex_numIdEEEvT0_NS_24const_host_device_scalarIT1_EEPKS5_PS5_b.has_indirect_call, 0
	.section	.AMDGPU.csdata,"",@progbits
; Kernel info:
; codeLenInByte = 260
; TotalNumSgprs: 24
; NumVgprs: 13
; ScratchSize: 16
; MemoryBound: 0
; FloatMode: 240
; IeeeMode: 1
; LDSByteSize: 0 bytes/workgroup (compile time only)
; SGPRBlocks: 2
; VGPRBlocks: 3
; NumSGPRsForWavesPerEU: 24
; NumVGPRsForWavesPerEU: 13
; Occupancy: 10
; WaveLimiterHint : 0
; COMPUTE_PGM_RSRC2:SCRATCH_EN: 1
; COMPUTE_PGM_RSRC2:USER_SGPR: 8
; COMPUTE_PGM_RSRC2:TRAP_HANDLER: 0
; COMPUTE_PGM_RSRC2:TGID_X_EN: 1
; COMPUTE_PGM_RSRC2:TGID_Y_EN: 0
; COMPUTE_PGM_RSRC2:TGID_Z_EN: 0
; COMPUTE_PGM_RSRC2:TIDIG_COMP_CNT: 0
	.section	.text._ZN9rocsparseL12csrgemm_copyILj1024EilEEvT0_PKT1_PS2_21rocsparse_index_base_S6_,"axG",@progbits,_ZN9rocsparseL12csrgemm_copyILj1024EilEEvT0_PKT1_PS2_21rocsparse_index_base_S6_,comdat
	.globl	_ZN9rocsparseL12csrgemm_copyILj1024EilEEvT0_PKT1_PS2_21rocsparse_index_base_S6_ ; -- Begin function _ZN9rocsparseL12csrgemm_copyILj1024EilEEvT0_PKT1_PS2_21rocsparse_index_base_S6_
	.p2align	8
	.type	_ZN9rocsparseL12csrgemm_copyILj1024EilEEvT0_PKT1_PS2_21rocsparse_index_base_S6_,@function
_ZN9rocsparseL12csrgemm_copyILj1024EilEEvT0_PKT1_PS2_21rocsparse_index_base_S6_: ; @_ZN9rocsparseL12csrgemm_copyILj1024EilEEvT0_PKT1_PS2_21rocsparse_index_base_S6_
; %bb.0:
	s_load_dword s0, s[4:5], 0x0
	v_lshl_or_b32 v0, s6, 10, v0
	s_waitcnt lgkmcnt(0)
	v_cmp_gt_i32_e32 vcc, s0, v0
	s_and_saveexec_b64 s[0:1], vcc
	s_cbranch_execz .LBB10_2
; %bb.1:
	s_load_dwordx4 s[0:3], s[4:5], 0x8
	s_load_dwordx2 s[6:7], s[4:5], 0x18
	v_ashrrev_i32_e32 v1, 31, v0
	v_lshlrev_b64 v[0:1], 3, v[0:1]
	s_waitcnt lgkmcnt(0)
	v_mov_b32_e32 v3, s1
	v_add_co_u32_e32 v2, vcc, s0, v0
	v_addc_co_u32_e32 v3, vcc, v3, v1, vcc
	global_load_dwordx2 v[2:3], v[2:3], off
	v_mov_b32_e32 v4, s3
	s_sub_u32 s0, s7, s6
	v_add_co_u32_e32 v0, vcc, s2, v0
	v_addc_co_u32_e32 v1, vcc, v4, v1, vcc
	s_subb_u32 s1, 0, 0
	v_mov_b32_e32 v4, s1
	s_waitcnt vmcnt(0)
	v_add_co_u32_e32 v2, vcc, s0, v2
	v_addc_co_u32_e32 v3, vcc, v4, v3, vcc
	global_store_dwordx2 v[0:1], v[2:3], off
.LBB10_2:
	s_endpgm
	.section	.rodata,"a",@progbits
	.p2align	6, 0x0
	.amdhsa_kernel _ZN9rocsparseL12csrgemm_copyILj1024EilEEvT0_PKT1_PS2_21rocsparse_index_base_S6_
		.amdhsa_group_segment_fixed_size 0
		.amdhsa_private_segment_fixed_size 0
		.amdhsa_kernarg_size 32
		.amdhsa_user_sgpr_count 6
		.amdhsa_user_sgpr_private_segment_buffer 1
		.amdhsa_user_sgpr_dispatch_ptr 0
		.amdhsa_user_sgpr_queue_ptr 0
		.amdhsa_user_sgpr_kernarg_segment_ptr 1
		.amdhsa_user_sgpr_dispatch_id 0
		.amdhsa_user_sgpr_flat_scratch_init 0
		.amdhsa_user_sgpr_private_segment_size 0
		.amdhsa_uses_dynamic_stack 0
		.amdhsa_system_sgpr_private_segment_wavefront_offset 0
		.amdhsa_system_sgpr_workgroup_id_x 1
		.amdhsa_system_sgpr_workgroup_id_y 0
		.amdhsa_system_sgpr_workgroup_id_z 0
		.amdhsa_system_sgpr_workgroup_info 0
		.amdhsa_system_vgpr_workitem_id 0
		.amdhsa_next_free_vgpr 5
		.amdhsa_next_free_sgpr 8
		.amdhsa_reserve_vcc 1
		.amdhsa_reserve_flat_scratch 0
		.amdhsa_float_round_mode_32 0
		.amdhsa_float_round_mode_16_64 0
		.amdhsa_float_denorm_mode_32 3
		.amdhsa_float_denorm_mode_16_64 3
		.amdhsa_dx10_clamp 1
		.amdhsa_ieee_mode 1
		.amdhsa_fp16_overflow 0
		.amdhsa_exception_fp_ieee_invalid_op 0
		.amdhsa_exception_fp_denorm_src 0
		.amdhsa_exception_fp_ieee_div_zero 0
		.amdhsa_exception_fp_ieee_overflow 0
		.amdhsa_exception_fp_ieee_underflow 0
		.amdhsa_exception_fp_ieee_inexact 0
		.amdhsa_exception_int_div_zero 0
	.end_amdhsa_kernel
	.section	.text._ZN9rocsparseL12csrgemm_copyILj1024EilEEvT0_PKT1_PS2_21rocsparse_index_base_S6_,"axG",@progbits,_ZN9rocsparseL12csrgemm_copyILj1024EilEEvT0_PKT1_PS2_21rocsparse_index_base_S6_,comdat
.Lfunc_end10:
	.size	_ZN9rocsparseL12csrgemm_copyILj1024EilEEvT0_PKT1_PS2_21rocsparse_index_base_S6_, .Lfunc_end10-_ZN9rocsparseL12csrgemm_copyILj1024EilEEvT0_PKT1_PS2_21rocsparse_index_base_S6_
                                        ; -- End function
	.set _ZN9rocsparseL12csrgemm_copyILj1024EilEEvT0_PKT1_PS2_21rocsparse_index_base_S6_.num_vgpr, 5
	.set _ZN9rocsparseL12csrgemm_copyILj1024EilEEvT0_PKT1_PS2_21rocsparse_index_base_S6_.num_agpr, 0
	.set _ZN9rocsparseL12csrgemm_copyILj1024EilEEvT0_PKT1_PS2_21rocsparse_index_base_S6_.numbered_sgpr, 8
	.set _ZN9rocsparseL12csrgemm_copyILj1024EilEEvT0_PKT1_PS2_21rocsparse_index_base_S6_.num_named_barrier, 0
	.set _ZN9rocsparseL12csrgemm_copyILj1024EilEEvT0_PKT1_PS2_21rocsparse_index_base_S6_.private_seg_size, 0
	.set _ZN9rocsparseL12csrgemm_copyILj1024EilEEvT0_PKT1_PS2_21rocsparse_index_base_S6_.uses_vcc, 1
	.set _ZN9rocsparseL12csrgemm_copyILj1024EilEEvT0_PKT1_PS2_21rocsparse_index_base_S6_.uses_flat_scratch, 0
	.set _ZN9rocsparseL12csrgemm_copyILj1024EilEEvT0_PKT1_PS2_21rocsparse_index_base_S6_.has_dyn_sized_stack, 0
	.set _ZN9rocsparseL12csrgemm_copyILj1024EilEEvT0_PKT1_PS2_21rocsparse_index_base_S6_.has_recursion, 0
	.set _ZN9rocsparseL12csrgemm_copyILj1024EilEEvT0_PKT1_PS2_21rocsparse_index_base_S6_.has_indirect_call, 0
	.section	.AMDGPU.csdata,"",@progbits
; Kernel info:
; codeLenInByte = 132
; TotalNumSgprs: 12
; NumVgprs: 5
; ScratchSize: 0
; MemoryBound: 0
; FloatMode: 240
; IeeeMode: 1
; LDSByteSize: 0 bytes/workgroup (compile time only)
; SGPRBlocks: 1
; VGPRBlocks: 1
; NumSGPRsForWavesPerEU: 12
; NumVGPRsForWavesPerEU: 5
; Occupancy: 10
; WaveLimiterHint : 0
; COMPUTE_PGM_RSRC2:SCRATCH_EN: 0
; COMPUTE_PGM_RSRC2:USER_SGPR: 6
; COMPUTE_PGM_RSRC2:TRAP_HANDLER: 0
; COMPUTE_PGM_RSRC2:TGID_X_EN: 1
; COMPUTE_PGM_RSRC2:TGID_Y_EN: 0
; COMPUTE_PGM_RSRC2:TGID_Z_EN: 0
; COMPUTE_PGM_RSRC2:TIDIG_COMP_CNT: 0
	.section	.text._ZN9rocsparseL12csrgemm_copyILj1024EllEEvT0_PKT1_PS2_21rocsparse_index_base_S6_,"axG",@progbits,_ZN9rocsparseL12csrgemm_copyILj1024EllEEvT0_PKT1_PS2_21rocsparse_index_base_S6_,comdat
	.globl	_ZN9rocsparseL12csrgemm_copyILj1024EllEEvT0_PKT1_PS2_21rocsparse_index_base_S6_ ; -- Begin function _ZN9rocsparseL12csrgemm_copyILj1024EllEEvT0_PKT1_PS2_21rocsparse_index_base_S6_
	.p2align	8
	.type	_ZN9rocsparseL12csrgemm_copyILj1024EllEEvT0_PKT1_PS2_21rocsparse_index_base_S6_,@function
_ZN9rocsparseL12csrgemm_copyILj1024EllEEvT0_PKT1_PS2_21rocsparse_index_base_S6_: ; @_ZN9rocsparseL12csrgemm_copyILj1024EllEEvT0_PKT1_PS2_21rocsparse_index_base_S6_
; %bb.0:
	s_load_dwordx2 s[0:1], s[4:5], 0x0
	v_lshl_or_b32 v0, s6, 10, v0
	v_mov_b32_e32 v1, 0
	s_waitcnt lgkmcnt(0)
	v_cmp_gt_i64_e32 vcc, s[0:1], v[0:1]
	s_and_saveexec_b64 s[0:1], vcc
	s_cbranch_execz .LBB11_2
; %bb.1:
	s_load_dwordx4 s[0:3], s[4:5], 0x8
	s_load_dwordx2 s[6:7], s[4:5], 0x18
	v_lshlrev_b64 v[0:1], 3, v[0:1]
	s_waitcnt lgkmcnt(0)
	v_mov_b32_e32 v3, s1
	v_add_co_u32_e32 v2, vcc, s0, v0
	v_addc_co_u32_e32 v3, vcc, v3, v1, vcc
	global_load_dwordx2 v[2:3], v[2:3], off
	v_mov_b32_e32 v4, s3
	s_sub_u32 s0, s7, s6
	v_add_co_u32_e32 v0, vcc, s2, v0
	v_addc_co_u32_e32 v1, vcc, v4, v1, vcc
	s_subb_u32 s1, 0, 0
	v_mov_b32_e32 v4, s1
	s_waitcnt vmcnt(0)
	v_add_co_u32_e32 v2, vcc, s0, v2
	v_addc_co_u32_e32 v3, vcc, v4, v3, vcc
	global_store_dwordx2 v[0:1], v[2:3], off
.LBB11_2:
	s_endpgm
	.section	.rodata,"a",@progbits
	.p2align	6, 0x0
	.amdhsa_kernel _ZN9rocsparseL12csrgemm_copyILj1024EllEEvT0_PKT1_PS2_21rocsparse_index_base_S6_
		.amdhsa_group_segment_fixed_size 0
		.amdhsa_private_segment_fixed_size 0
		.amdhsa_kernarg_size 32
		.amdhsa_user_sgpr_count 6
		.amdhsa_user_sgpr_private_segment_buffer 1
		.amdhsa_user_sgpr_dispatch_ptr 0
		.amdhsa_user_sgpr_queue_ptr 0
		.amdhsa_user_sgpr_kernarg_segment_ptr 1
		.amdhsa_user_sgpr_dispatch_id 0
		.amdhsa_user_sgpr_flat_scratch_init 0
		.amdhsa_user_sgpr_private_segment_size 0
		.amdhsa_uses_dynamic_stack 0
		.amdhsa_system_sgpr_private_segment_wavefront_offset 0
		.amdhsa_system_sgpr_workgroup_id_x 1
		.amdhsa_system_sgpr_workgroup_id_y 0
		.amdhsa_system_sgpr_workgroup_id_z 0
		.amdhsa_system_sgpr_workgroup_info 0
		.amdhsa_system_vgpr_workitem_id 0
		.amdhsa_next_free_vgpr 5
		.amdhsa_next_free_sgpr 8
		.amdhsa_reserve_vcc 1
		.amdhsa_reserve_flat_scratch 0
		.amdhsa_float_round_mode_32 0
		.amdhsa_float_round_mode_16_64 0
		.amdhsa_float_denorm_mode_32 3
		.amdhsa_float_denorm_mode_16_64 3
		.amdhsa_dx10_clamp 1
		.amdhsa_ieee_mode 1
		.amdhsa_fp16_overflow 0
		.amdhsa_exception_fp_ieee_invalid_op 0
		.amdhsa_exception_fp_denorm_src 0
		.amdhsa_exception_fp_ieee_div_zero 0
		.amdhsa_exception_fp_ieee_overflow 0
		.amdhsa_exception_fp_ieee_underflow 0
		.amdhsa_exception_fp_ieee_inexact 0
		.amdhsa_exception_int_div_zero 0
	.end_amdhsa_kernel
	.section	.text._ZN9rocsparseL12csrgemm_copyILj1024EllEEvT0_PKT1_PS2_21rocsparse_index_base_S6_,"axG",@progbits,_ZN9rocsparseL12csrgemm_copyILj1024EllEEvT0_PKT1_PS2_21rocsparse_index_base_S6_,comdat
.Lfunc_end11:
	.size	_ZN9rocsparseL12csrgemm_copyILj1024EllEEvT0_PKT1_PS2_21rocsparse_index_base_S6_, .Lfunc_end11-_ZN9rocsparseL12csrgemm_copyILj1024EllEEvT0_PKT1_PS2_21rocsparse_index_base_S6_
                                        ; -- End function
	.set _ZN9rocsparseL12csrgemm_copyILj1024EllEEvT0_PKT1_PS2_21rocsparse_index_base_S6_.num_vgpr, 5
	.set _ZN9rocsparseL12csrgemm_copyILj1024EllEEvT0_PKT1_PS2_21rocsparse_index_base_S6_.num_agpr, 0
	.set _ZN9rocsparseL12csrgemm_copyILj1024EllEEvT0_PKT1_PS2_21rocsparse_index_base_S6_.numbered_sgpr, 8
	.set _ZN9rocsparseL12csrgemm_copyILj1024EllEEvT0_PKT1_PS2_21rocsparse_index_base_S6_.num_named_barrier, 0
	.set _ZN9rocsparseL12csrgemm_copyILj1024EllEEvT0_PKT1_PS2_21rocsparse_index_base_S6_.private_seg_size, 0
	.set _ZN9rocsparseL12csrgemm_copyILj1024EllEEvT0_PKT1_PS2_21rocsparse_index_base_S6_.uses_vcc, 1
	.set _ZN9rocsparseL12csrgemm_copyILj1024EllEEvT0_PKT1_PS2_21rocsparse_index_base_S6_.uses_flat_scratch, 0
	.set _ZN9rocsparseL12csrgemm_copyILj1024EllEEvT0_PKT1_PS2_21rocsparse_index_base_S6_.has_dyn_sized_stack, 0
	.set _ZN9rocsparseL12csrgemm_copyILj1024EllEEvT0_PKT1_PS2_21rocsparse_index_base_S6_.has_recursion, 0
	.set _ZN9rocsparseL12csrgemm_copyILj1024EllEEvT0_PKT1_PS2_21rocsparse_index_base_S6_.has_indirect_call, 0
	.section	.AMDGPU.csdata,"",@progbits
; Kernel info:
; codeLenInByte = 132
; TotalNumSgprs: 12
; NumVgprs: 5
; ScratchSize: 0
; MemoryBound: 0
; FloatMode: 240
; IeeeMode: 1
; LDSByteSize: 0 bytes/workgroup (compile time only)
; SGPRBlocks: 1
; VGPRBlocks: 1
; NumSGPRsForWavesPerEU: 12
; NumVGPRsForWavesPerEU: 5
; Occupancy: 10
; WaveLimiterHint : 0
; COMPUTE_PGM_RSRC2:SCRATCH_EN: 0
; COMPUTE_PGM_RSRC2:USER_SGPR: 6
; COMPUTE_PGM_RSRC2:TRAP_HANDLER: 0
; COMPUTE_PGM_RSRC2:TGID_X_EN: 1
; COMPUTE_PGM_RSRC2:TGID_Y_EN: 0
; COMPUTE_PGM_RSRC2:TGID_Z_EN: 0
; COMPUTE_PGM_RSRC2:TIDIG_COMP_CNT: 0
	.section	.AMDGPU.gpr_maximums,"",@progbits
	.set amdgpu.max_num_vgpr, 0
	.set amdgpu.max_num_agpr, 0
	.set amdgpu.max_num_sgpr, 0
	.section	.AMDGPU.csdata,"",@progbits
	.type	__hip_cuid_add3ec1882c760e5,@object ; @__hip_cuid_add3ec1882c760e5
	.section	.bss,"aw",@nobits
	.globl	__hip_cuid_add3ec1882c760e5
__hip_cuid_add3ec1882c760e5:
	.byte	0                               ; 0x0
	.size	__hip_cuid_add3ec1882c760e5, 1

	.ident	"AMD clang version 22.0.0git (https://github.com/RadeonOpenCompute/llvm-project roc-7.2.4 26084 f58b06dce1f9c15707c5f808fd002e18c2accf7e)"
	.section	".note.GNU-stack","",@progbits
	.addrsig
	.addrsig_sym __hip_cuid_add3ec1882c760e5
	.amdgpu_metadata
---
amdhsa.kernels:
  - .args:
      - .offset:         0
        .size:           4
        .value_kind:     by_value
      - .actual_access:  read_only
        .address_space:  global
        .offset:         8
        .size:           8
        .value_kind:     global_buffer
      - .actual_access:  write_only
        .address_space:  global
        .offset:         16
        .size:           8
        .value_kind:     global_buffer
      - .offset:         24
        .size:           4
        .value_kind:     by_value
      - .offset:         28
        .size:           4
        .value_kind:     by_value
    .group_segment_fixed_size: 0
    .kernarg_segment_align: 8
    .kernarg_segment_size: 32
    .language:       OpenCL C
    .language_version:
      - 2
      - 0
    .max_flat_workgroup_size: 1024
    .name:           _ZN9rocsparseL12csrgemm_copyILj1024EiiEEvT0_PKT1_PS2_21rocsparse_index_base_S6_
    .private_segment_fixed_size: 0
    .sgpr_count:     12
    .sgpr_spill_count: 0
    .symbol:         _ZN9rocsparseL12csrgemm_copyILj1024EiiEEvT0_PKT1_PS2_21rocsparse_index_base_S6_.kd
    .uniform_work_group_size: 1
    .uses_dynamic_stack: false
    .vgpr_count:     4
    .vgpr_spill_count: 0
    .wavefront_size: 64
  - .args:
      - .offset:         0
        .size:           4
        .value_kind:     by_value
      - .offset:         8
        .size:           8
        .value_kind:     by_value
      - .actual_access:  read_only
        .address_space:  global
        .offset:         16
        .size:           8
        .value_kind:     global_buffer
      - .actual_access:  write_only
        .address_space:  global
        .offset:         24
        .size:           8
        .value_kind:     global_buffer
      - .offset:         32
        .size:           1
        .value_kind:     by_value
    .group_segment_fixed_size: 0
    .kernarg_segment_align: 8
    .kernarg_segment_size: 36
    .language:       OpenCL C
    .language_version:
      - 2
      - 0
    .max_flat_workgroup_size: 1024
    .name:           _ZN9rocsparseL18csrgemm_copy_scaleILj1024EifEEvT0_NS_24const_host_device_scalarIT1_EEPKS3_PS3_b
    .private_segment_fixed_size: 0
    .sgpr_count:     13
    .sgpr_spill_count: 0
    .symbol:         _ZN9rocsparseL18csrgemm_copy_scaleILj1024EifEEvT0_NS_24const_host_device_scalarIT1_EEPKS3_PS3_b.kd
    .uniform_work_group_size: 1
    .uses_dynamic_stack: false
    .vgpr_count:     4
    .vgpr_spill_count: 0
    .wavefront_size: 64
  - .args:
      - .offset:         0
        .size:           4
        .value_kind:     by_value
      - .offset:         8
        .size:           8
        .value_kind:     by_value
      - .actual_access:  read_only
        .address_space:  global
        .offset:         16
        .size:           8
        .value_kind:     global_buffer
      - .actual_access:  write_only
        .address_space:  global
        .offset:         24
        .size:           8
        .value_kind:     global_buffer
      - .offset:         32
        .size:           1
        .value_kind:     by_value
    .group_segment_fixed_size: 0
    .kernarg_segment_align: 8
    .kernarg_segment_size: 36
    .language:       OpenCL C
    .language_version:
      - 2
      - 0
    .max_flat_workgroup_size: 1024
    .name:           _ZN9rocsparseL18csrgemm_copy_scaleILj1024EidEEvT0_NS_24const_host_device_scalarIT1_EEPKS3_PS3_b
    .private_segment_fixed_size: 0
    .sgpr_count:     11
    .sgpr_spill_count: 0
    .symbol:         _ZN9rocsparseL18csrgemm_copy_scaleILj1024EidEEvT0_NS_24const_host_device_scalarIT1_EEPKS3_PS3_b.kd
    .uniform_work_group_size: 1
    .uses_dynamic_stack: false
    .vgpr_count:     7
    .vgpr_spill_count: 0
    .wavefront_size: 64
  - .args:
      - .offset:         0
        .size:           4
        .value_kind:     by_value
      - .offset:         8
        .size:           8
        .value_kind:     by_value
      - .actual_access:  read_only
        .address_space:  global
        .offset:         16
        .size:           8
        .value_kind:     global_buffer
      - .actual_access:  write_only
        .address_space:  global
        .offset:         24
        .size:           8
        .value_kind:     global_buffer
      - .offset:         32
        .size:           1
        .value_kind:     by_value
    .group_segment_fixed_size: 0
    .kernarg_segment_align: 8
    .kernarg_segment_size: 36
    .language:       OpenCL C
    .language_version:
      - 2
      - 0
    .max_flat_workgroup_size: 1024
    .name:           _ZN9rocsparseL18csrgemm_copy_scaleILj1024Ei21rocsparse_complex_numIfEEEvT0_NS_24const_host_device_scalarIT1_EEPKS5_PS5_b
    .private_segment_fixed_size: 0
    .sgpr_count:     16
    .sgpr_spill_count: 0
    .symbol:         _ZN9rocsparseL18csrgemm_copy_scaleILj1024Ei21rocsparse_complex_numIfEEEvT0_NS_24const_host_device_scalarIT1_EEPKS5_PS5_b.kd
    .uniform_work_group_size: 1
    .uses_dynamic_stack: false
    .vgpr_count:     7
    .vgpr_spill_count: 0
    .wavefront_size: 64
  - .args:
      - .offset:         0
        .size:           4
        .value_kind:     by_value
      - .offset:         8
        .size:           16
        .value_kind:     by_value
      - .actual_access:  read_only
        .address_space:  global
        .offset:         24
        .size:           8
        .value_kind:     global_buffer
      - .actual_access:  write_only
        .address_space:  global
        .offset:         32
        .size:           8
        .value_kind:     global_buffer
      - .offset:         40
        .size:           1
        .value_kind:     by_value
    .group_segment_fixed_size: 0
    .kernarg_segment_align: 8
    .kernarg_segment_size: 44
    .language:       OpenCL C
    .language_version:
      - 2
      - 0
    .max_flat_workgroup_size: 1024
    .name:           _ZN9rocsparseL18csrgemm_copy_scaleILj1024Ei21rocsparse_complex_numIdEEEvT0_NS_24const_host_device_scalarIT1_EEPKS5_PS5_b
    .private_segment_fixed_size: 16
    .sgpr_count:     22
    .sgpr_spill_count: 0
    .symbol:         _ZN9rocsparseL18csrgemm_copy_scaleILj1024Ei21rocsparse_complex_numIdEEEvT0_NS_24const_host_device_scalarIT1_EEPKS5_PS5_b.kd
    .uniform_work_group_size: 1
    .uses_dynamic_stack: false
    .vgpr_count:     13
    .vgpr_spill_count: 0
    .wavefront_size: 64
  - .args:
      - .offset:         0
        .size:           8
        .value_kind:     by_value
      - .actual_access:  read_only
        .address_space:  global
        .offset:         8
        .size:           8
        .value_kind:     global_buffer
      - .actual_access:  write_only
        .address_space:  global
        .offset:         16
        .size:           8
        .value_kind:     global_buffer
      - .offset:         24
        .size:           4
        .value_kind:     by_value
      - .offset:         28
        .size:           4
        .value_kind:     by_value
    .group_segment_fixed_size: 0
    .kernarg_segment_align: 8
    .kernarg_segment_size: 32
    .language:       OpenCL C
    .language_version:
      - 2
      - 0
    .max_flat_workgroup_size: 1024
    .name:           _ZN9rocsparseL12csrgemm_copyILj1024EliEEvT0_PKT1_PS2_21rocsparse_index_base_S6_
    .private_segment_fixed_size: 0
    .sgpr_count:     12
    .sgpr_spill_count: 0
    .symbol:         _ZN9rocsparseL12csrgemm_copyILj1024EliEEvT0_PKT1_PS2_21rocsparse_index_base_S6_.kd
    .uniform_work_group_size: 1
    .uses_dynamic_stack: false
    .vgpr_count:     4
    .vgpr_spill_count: 0
    .wavefront_size: 64
  - .args:
      - .offset:         0
        .size:           8
        .value_kind:     by_value
      - .offset:         8
        .size:           8
        .value_kind:     by_value
      - .actual_access:  read_only
        .address_space:  global
        .offset:         16
        .size:           8
        .value_kind:     global_buffer
      - .actual_access:  write_only
        .address_space:  global
        .offset:         24
        .size:           8
        .value_kind:     global_buffer
      - .offset:         32
        .size:           1
        .value_kind:     by_value
    .group_segment_fixed_size: 0
    .kernarg_segment_align: 8
    .kernarg_segment_size: 36
    .language:       OpenCL C
    .language_version:
      - 2
      - 0
    .max_flat_workgroup_size: 1024
    .name:           _ZN9rocsparseL18csrgemm_copy_scaleILj1024ElfEEvT0_NS_24const_host_device_scalarIT1_EEPKS3_PS3_b
    .private_segment_fixed_size: 0
    .sgpr_count:     16
    .sgpr_spill_count: 0
    .symbol:         _ZN9rocsparseL18csrgemm_copy_scaleILj1024ElfEEvT0_NS_24const_host_device_scalarIT1_EEPKS3_PS3_b.kd
    .uniform_work_group_size: 1
    .uses_dynamic_stack: false
    .vgpr_count:     4
    .vgpr_spill_count: 0
    .wavefront_size: 64
  - .args:
      - .offset:         0
        .size:           8
        .value_kind:     by_value
      - .offset:         8
        .size:           8
        .value_kind:     by_value
      - .actual_access:  read_only
        .address_space:  global
        .offset:         16
        .size:           8
        .value_kind:     global_buffer
      - .actual_access:  write_only
        .address_space:  global
        .offset:         24
        .size:           8
        .value_kind:     global_buffer
      - .offset:         32
        .size:           1
        .value_kind:     by_value
    .group_segment_fixed_size: 0
    .kernarg_segment_align: 8
    .kernarg_segment_size: 36
    .language:       OpenCL C
    .language_version:
      - 2
      - 0
    .max_flat_workgroup_size: 1024
    .name:           _ZN9rocsparseL18csrgemm_copy_scaleILj1024EldEEvT0_NS_24const_host_device_scalarIT1_EEPKS3_PS3_b
    .private_segment_fixed_size: 0
    .sgpr_count:     14
    .sgpr_spill_count: 0
    .symbol:         _ZN9rocsparseL18csrgemm_copy_scaleILj1024EldEEvT0_NS_24const_host_device_scalarIT1_EEPKS3_PS3_b.kd
    .uniform_work_group_size: 1
    .uses_dynamic_stack: false
    .vgpr_count:     7
    .vgpr_spill_count: 0
    .wavefront_size: 64
  - .args:
      - .offset:         0
        .size:           8
        .value_kind:     by_value
      - .offset:         8
        .size:           8
        .value_kind:     by_value
      - .actual_access:  read_only
        .address_space:  global
        .offset:         16
        .size:           8
        .value_kind:     global_buffer
      - .actual_access:  write_only
        .address_space:  global
        .offset:         24
        .size:           8
        .value_kind:     global_buffer
      - .offset:         32
        .size:           1
        .value_kind:     by_value
    .group_segment_fixed_size: 0
    .kernarg_segment_align: 8
    .kernarg_segment_size: 36
    .language:       OpenCL C
    .language_version:
      - 2
      - 0
    .max_flat_workgroup_size: 1024
    .name:           _ZN9rocsparseL18csrgemm_copy_scaleILj1024El21rocsparse_complex_numIfEEEvT0_NS_24const_host_device_scalarIT1_EEPKS5_PS5_b
    .private_segment_fixed_size: 0
    .sgpr_count:     16
    .sgpr_spill_count: 0
    .symbol:         _ZN9rocsparseL18csrgemm_copy_scaleILj1024El21rocsparse_complex_numIfEEEvT0_NS_24const_host_device_scalarIT1_EEPKS5_PS5_b.kd
    .uniform_work_group_size: 1
    .uses_dynamic_stack: false
    .vgpr_count:     7
    .vgpr_spill_count: 0
    .wavefront_size: 64
  - .args:
      - .offset:         0
        .size:           8
        .value_kind:     by_value
      - .offset:         8
        .size:           16
        .value_kind:     by_value
      - .actual_access:  read_only
        .address_space:  global
        .offset:         24
        .size:           8
        .value_kind:     global_buffer
      - .actual_access:  write_only
        .address_space:  global
        .offset:         32
        .size:           8
        .value_kind:     global_buffer
      - .offset:         40
        .size:           1
        .value_kind:     by_value
    .group_segment_fixed_size: 0
    .kernarg_segment_align: 8
    .kernarg_segment_size: 44
    .language:       OpenCL C
    .language_version:
      - 2
      - 0
    .max_flat_workgroup_size: 1024
    .name:           _ZN9rocsparseL18csrgemm_copy_scaleILj1024El21rocsparse_complex_numIdEEEvT0_NS_24const_host_device_scalarIT1_EEPKS5_PS5_b
    .private_segment_fixed_size: 16
    .sgpr_count:     24
    .sgpr_spill_count: 0
    .symbol:         _ZN9rocsparseL18csrgemm_copy_scaleILj1024El21rocsparse_complex_numIdEEEvT0_NS_24const_host_device_scalarIT1_EEPKS5_PS5_b.kd
    .uniform_work_group_size: 1
    .uses_dynamic_stack: false
    .vgpr_count:     13
    .vgpr_spill_count: 0
    .wavefront_size: 64
  - .args:
      - .offset:         0
        .size:           4
        .value_kind:     by_value
      - .actual_access:  read_only
        .address_space:  global
        .offset:         8
        .size:           8
        .value_kind:     global_buffer
      - .actual_access:  write_only
        .address_space:  global
        .offset:         16
        .size:           8
        .value_kind:     global_buffer
      - .offset:         24
        .size:           4
        .value_kind:     by_value
      - .offset:         28
        .size:           4
        .value_kind:     by_value
    .group_segment_fixed_size: 0
    .kernarg_segment_align: 8
    .kernarg_segment_size: 32
    .language:       OpenCL C
    .language_version:
      - 2
      - 0
    .max_flat_workgroup_size: 1024
    .name:           _ZN9rocsparseL12csrgemm_copyILj1024EilEEvT0_PKT1_PS2_21rocsparse_index_base_S6_
    .private_segment_fixed_size: 0
    .sgpr_count:     12
    .sgpr_spill_count: 0
    .symbol:         _ZN9rocsparseL12csrgemm_copyILj1024EilEEvT0_PKT1_PS2_21rocsparse_index_base_S6_.kd
    .uniform_work_group_size: 1
    .uses_dynamic_stack: false
    .vgpr_count:     5
    .vgpr_spill_count: 0
    .wavefront_size: 64
  - .args:
      - .offset:         0
        .size:           8
        .value_kind:     by_value
      - .actual_access:  read_only
        .address_space:  global
        .offset:         8
        .size:           8
        .value_kind:     global_buffer
      - .actual_access:  write_only
        .address_space:  global
        .offset:         16
        .size:           8
        .value_kind:     global_buffer
      - .offset:         24
        .size:           4
        .value_kind:     by_value
      - .offset:         28
        .size:           4
        .value_kind:     by_value
    .group_segment_fixed_size: 0
    .kernarg_segment_align: 8
    .kernarg_segment_size: 32
    .language:       OpenCL C
    .language_version:
      - 2
      - 0
    .max_flat_workgroup_size: 1024
    .name:           _ZN9rocsparseL12csrgemm_copyILj1024EllEEvT0_PKT1_PS2_21rocsparse_index_base_S6_
    .private_segment_fixed_size: 0
    .sgpr_count:     12
    .sgpr_spill_count: 0
    .symbol:         _ZN9rocsparseL12csrgemm_copyILj1024EllEEvT0_PKT1_PS2_21rocsparse_index_base_S6_.kd
    .uniform_work_group_size: 1
    .uses_dynamic_stack: false
    .vgpr_count:     5
    .vgpr_spill_count: 0
    .wavefront_size: 64
amdhsa.target:   amdgcn-amd-amdhsa--gfx906
amdhsa.version:
  - 1
  - 2
...

	.end_amdgpu_metadata
